;; amdgpu-corpus repo=ROCm/rocFFT kind=compiled arch=gfx950 opt=O3
	.text
	.amdgcn_target "amdgcn-amd-amdhsa--gfx950"
	.amdhsa_code_object_version 6
	.protected	bluestein_single_back_len340_dim1_dp_op_CI_CI ; -- Begin function bluestein_single_back_len340_dim1_dp_op_CI_CI
	.globl	bluestein_single_back_len340_dim1_dp_op_CI_CI
	.p2align	8
	.type	bluestein_single_back_len340_dim1_dp_op_CI_CI,@function
bluestein_single_back_len340_dim1_dp_op_CI_CI: ; @bluestein_single_back_len340_dim1_dp_op_CI_CI
; %bb.0:
	s_load_dwordx4 s[8:11], s[0:1], 0x28
	v_mul_u32_u24_e32 v1, 0x788, v0
	v_lshrrev_b32_e32 v2, 16, v1
	v_mad_u64_u32 v[146:147], s[2:3], s2, 3, v[2:3]
	v_mov_b32_e32 v145, 0
	v_mov_b32_e32 v147, v145
	s_waitcnt lgkmcnt(0)
	v_cmp_gt_u64_e32 vcc, s[8:9], v[146:147]
	s_and_saveexec_b64 s[2:3], vcc
	s_cbranch_execz .LBB0_15
; %bb.1:
	v_mul_lo_u16_e32 v1, 34, v2
	s_mov_b32 s2, 0xaaaaaaab
	v_sub_u16_e32 v144, v0, v1
	v_mul_hi_u32 v0, v146, s2
	s_load_dwordx2 s[8:9], s[0:1], 0x0
	s_load_dwordx2 s[12:13], s[0:1], 0x38
	v_lshrrev_b32_e32 v0, 1, v0
	v_lshl_add_u32 v0, v0, 1, v0
	v_sub_u32_e32 v0, v146, v0
	v_mul_u32_u24_e32 v152, 0x154, v0
	v_cmp_gt_u16_e32 vcc, 20, v144
	v_lshlrev_b32_e32 v178, 4, v144
	v_lshlrev_b32_e32 v147, 4, v152
	s_and_saveexec_b64 s[14:15], vcc
	s_cbranch_execz .LBB0_3
; %bb.2:
	s_load_dwordx2 s[2:3], s[0:1], 0x18
	v_mov_b32_e32 v0, s10
	v_mov_b32_e32 v1, s11
	;; [unrolled: 1-line block ×3, first 2 shown]
	v_or_b32_e32 v79, 0xa0, v144
	s_waitcnt lgkmcnt(0)
	s_load_dwordx4 s[4:7], s[2:3], 0x0
	v_or_b32_e32 v143, 0x140, v144
	v_lshlrev_b32_e32 v62, 4, v143
	v_mov_b32_e32 v98, 0x280
	v_mov_b32_e32 v179, 0
	s_waitcnt lgkmcnt(0)
	v_mad_u64_u32 v[2:3], s[2:3], s6, v146, 0
	v_mad_u64_u32 v[4:5], s[2:3], s4, v144, 0
	v_mov_b32_e32 v6, v3
	v_mov_b32_e32 v8, v5
	v_mad_u64_u32 v[6:7], s[2:3], s7, v146, v[6:7]
	v_mov_b32_e32 v3, v6
	v_mad_u64_u32 v[6:7], s[2:3], s5, v144, v[8:9]
	v_mov_b32_e32 v5, v6
	v_lshl_add_u64 v[40:41], v[2:3], 4, v[0:1]
	v_lshl_add_u64 v[42:43], v[4:5], 4, v[40:41]
	global_load_dwordx4 v[0:3], v178, s[8:9]
	global_load_dwordx4 v[4:7], v[42:43], off
	s_mul_i32 s6, s5, 0x140
	v_mad_u64_u32 v[42:43], s[2:3], s4, v44, v[42:43]
	v_add_u32_e32 v43, s6, v43
	global_load_dwordx4 v[8:11], v178, s[8:9] offset:320
	global_load_dwordx4 v[12:15], v178, s[8:9] offset:640
	;; [unrolled: 1-line block ×12, first 2 shown]
	global_load_dwordx4 v[66:69], v[42:43], off
	v_mad_u64_u32 v[42:43], s[2:3], s4, v44, v[42:43]
	v_add_u32_e32 v43, s6, v43
	global_load_dwordx4 v[70:73], v[42:43], off
	v_mad_u64_u32 v[42:43], s[2:3], s4, v44, v[42:43]
	v_add_u32_e32 v43, s6, v43
	v_mad_u64_u32 v[86:87], s[2:3], s4, v79, 0
	global_load_dwordx4 v[74:77], v[42:43], off
	v_mad_u64_u32 v[42:43], s[2:3], s4, v44, v[42:43]
	v_mov_b32_e32 v78, v87
	v_add_u32_e32 v43, s6, v43
	v_mad_u64_u32 v[82:83], s[2:3], s5, v79, v[78:79]
	global_load_dwordx4 v[78:81], v[42:43], off
	v_mad_u64_u32 v[42:43], s[2:3], s4, v44, v[42:43]
	v_add_u32_e32 v43, s6, v43
	v_mov_b32_e32 v87, v82
	global_load_dwordx4 v[82:85], v[42:43], off
	v_mad_u64_u32 v[42:43], s[2:3], s4, v44, v[42:43]
	v_add_u32_e32 v43, s6, v43
	global_load_dwordx4 v[62:65], v62, s[8:9]
	v_lshl_add_u64 v[94:95], v[86:87], 4, v[40:41]
	global_load_dwordx4 v[86:89], v[42:43], off
	global_load_dwordx4 v[90:93], v[94:95], off
	v_mad_u64_u32 v[42:43], s[2:3], s4, v44, v[42:43]
	v_add_u32_e32 v43, s6, v43
	global_load_dwordx4 v[94:97], v[42:43], off
	s_mul_i32 s7, s5, 0x280
	v_mad_u64_u32 v[42:43], s[2:3], s4, v98, v[42:43]
	v_add_u32_e32 v43, s7, v43
	global_load_dwordx4 v[98:101], v[42:43], off
	v_mad_u64_u32 v[42:43], s[2:3], s4, v44, v[42:43]
	v_add_u32_e32 v43, s6, v43
	global_load_dwordx4 v[102:105], v[42:43], off
	;; [unrolled: 3-line block ×4, first 2 shown]
	v_mad_u64_u32 v[42:43], s[2:3], s4, v44, v[42:43]
	v_lshl_add_u64 v[118:119], s[8:9], 0, v[178:179]
	s_movk_i32 s2, 0x1000
	v_add_u32_e32 v43, s6, v43
	v_add_co_u32_e64 v134, s[2:3], s2, v118
	global_load_dwordx4 v[114:117], v[42:43], off
	s_nop 0
	v_addc_co_u32_e64 v135, s[2:3], 0, v119, s[2:3]
	v_mad_u64_u32 v[42:43], s[2:3], s4, v44, v[42:43]
	v_add_u32_e32 v43, s6, v43
	global_load_dwordx4 v[118:121], v[134:135], off offset:64
	global_load_dwordx4 v[122:125], v[42:43], off
	global_load_dwordx4 v[126:129], v[134:135], off offset:384
	v_mad_u64_u32 v[42:43], s[2:3], s4, v44, v[42:43]
	v_mad_u64_u32 v[140:141], s[2:3], s4, v143, 0
	v_add_u32_e32 v45, v147, v178
	v_add_u32_e32 v43, s6, v43
	v_mov_b32_e32 v44, v141
	global_load_dwordx4 v[130:133], v[42:43], off
	s_nop 0
	global_load_dwordx4 v[134:137], v[134:135], off offset:704
	v_mad_u64_u32 v[42:43], s[2:3], s5, v143, v[44:45]
	v_mov_b32_e32 v141, v42
	v_lshl_add_u64 v[40:41], v[140:141], 4, v[40:41]
	global_load_dwordx4 v[40:43], v[40:41], off
	s_waitcnt vmcnt(32)
	v_mul_f64 v[138:139], v[4:5], v[2:3]
	v_fma_f64 v[140:141], v[6:7], v[0:1], -v[138:139]
	v_mul_f64 v[138:139], v[6:7], v[2:3]
	v_fmac_f64_e32 v[138:139], v[4:5], v[0:1]
	s_waitcnt vmcnt(19)
	v_mul_f64 v[0:1], v[68:69], v[10:11]
	v_mul_f64 v[2:3], v[66:67], v[10:11]
	v_lshl_add_u32 v142, v144, 4, v147
	v_fmac_f64_e32 v[0:1], v[66:67], v[8:9]
	v_fma_f64 v[2:3], v[68:69], v[8:9], -v[2:3]
	ds_write_b128 v142, v[138:141]
	ds_write_b128 v45, v[0:3] offset:320
	s_waitcnt vmcnt(18)
	v_mul_f64 v[0:1], v[72:73], v[14:15]
	v_mul_f64 v[2:3], v[70:71], v[14:15]
	v_fmac_f64_e32 v[0:1], v[70:71], v[12:13]
	v_fma_f64 v[2:3], v[72:73], v[12:13], -v[2:3]
	ds_write_b128 v45, v[0:3] offset:640
	s_waitcnt vmcnt(17)
	v_mul_f64 v[0:1], v[76:77], v[18:19]
	v_mul_f64 v[2:3], v[74:75], v[18:19]
	v_fmac_f64_e32 v[0:1], v[74:75], v[16:17]
	v_fma_f64 v[2:3], v[76:77], v[16:17], -v[2:3]
	;; [unrolled: 6-line block ×5, first 2 shown]
	ds_write_b128 v45, v[0:3] offset:1920
	s_waitcnt vmcnt(11)
	v_mul_f64 v[0:1], v[94:95], v[34:35]
	v_fma_f64 v[2:3], v[96:97], v[32:33], -v[0:1]
	v_mul_f64 v[0:1], v[96:97], v[34:35]
	v_fmac_f64_e32 v[0:1], v[94:95], v[32:33]
	ds_write_b128 v45, v[0:3] offset:2240
	v_mul_f64 v[0:1], v[92:93], v[38:39]
	v_mul_f64 v[2:3], v[90:91], v[38:39]
	v_fmac_f64_e32 v[0:1], v[90:91], v[36:37]
	v_fma_f64 v[2:3], v[92:93], v[36:37], -v[2:3]
	ds_write_b128 v45, v[0:3] offset:2560
	s_waitcnt vmcnt(10)
	v_mul_f64 v[0:1], v[100:101], v[48:49]
	v_mul_f64 v[2:3], v[98:99], v[48:49]
	v_fmac_f64_e32 v[0:1], v[98:99], v[46:47]
	v_fma_f64 v[2:3], v[100:101], v[46:47], -v[2:3]
	ds_write_b128 v45, v[0:3] offset:2880
	s_waitcnt vmcnt(9)
	;; [unrolled: 6-line block ×8, first 2 shown]
	v_mul_f64 v[0:1], v[42:43], v[64:65]
	v_mul_f64 v[2:3], v[40:41], v[64:65]
	v_fmac_f64_e32 v[0:1], v[40:41], v[62:63]
	v_fma_f64 v[2:3], v[42:43], v[62:63], -v[2:3]
	ds_write_b128 v45, v[0:3] offset:5120
.LBB0_3:
	s_or_b64 exec, exec, s[14:15]
	s_load_dwordx2 s[4:5], s[0:1], 0x20
	s_load_dwordx2 s[2:3], s[0:1], 0x8
	s_waitcnt lgkmcnt(0)
	s_barrier
	s_waitcnt lgkmcnt(0)
                                        ; implicit-def: $vgpr28_vgpr29
                                        ; implicit-def: $vgpr32_vgpr33
                                        ; implicit-def: $vgpr36_vgpr37
                                        ; implicit-def: $vgpr40_vgpr41
                                        ; implicit-def: $vgpr44_vgpr45
                                        ; implicit-def: $vgpr48_vgpr49
                                        ; implicit-def: $vgpr52_vgpr53
                                        ; implicit-def: $vgpr56_vgpr57
                                        ; implicit-def: $vgpr60_vgpr61
                                        ; implicit-def: $vgpr64_vgpr65
                                        ; implicit-def: $vgpr68_vgpr69
                                        ; implicit-def: $vgpr72_vgpr73
                                        ; implicit-def: $vgpr76_vgpr77
                                        ; implicit-def: $vgpr80_vgpr81
                                        ; implicit-def: $vgpr84_vgpr85
                                        ; implicit-def: $vgpr88_vgpr89
                                        ; implicit-def: $vgpr92_vgpr93
	s_and_saveexec_b64 s[0:1], vcc
	s_cbranch_execz .LBB0_5
; %bb.4:
	v_lshl_add_u32 v0, v152, 4, v178
	ds_read_b128 v[28:31], v0
	ds_read_b128 v[32:35], v0 offset:320
	ds_read_b128 v[36:39], v0 offset:640
	ds_read_b128 v[40:43], v0 offset:960
	ds_read_b128 v[44:47], v0 offset:1280
	ds_read_b128 v[48:51], v0 offset:1600
	ds_read_b128 v[52:55], v0 offset:1920
	ds_read_b128 v[56:59], v0 offset:2240
	ds_read_b128 v[60:63], v0 offset:2560
	ds_read_b128 v[64:67], v0 offset:2880
	ds_read_b128 v[68:71], v0 offset:3200
	ds_read_b128 v[72:75], v0 offset:3520
	ds_read_b128 v[76:79], v0 offset:3840
	ds_read_b128 v[80:83], v0 offset:4160
	ds_read_b128 v[84:87], v0 offset:4480
	ds_read_b128 v[88:91], v0 offset:4800
	ds_read_b128 v[92:95], v0 offset:5120
.LBB0_5:
	s_or_b64 exec, exec, s[0:1]
	s_mov_b32 s24, 0x5d8e7cdc
	s_mov_b32 s26, 0x2a9d6da3
	s_waitcnt lgkmcnt(0)
	v_add_f64 v[96:97], v[34:35], -v[94:95]
	s_mov_b32 s0, 0x370991
	s_mov_b32 s25, 0xbfd71e95
	;; [unrolled: 1-line block ×3, first 2 shown]
	v_add_f64 v[98:99], v[38:39], -v[90:91]
	v_add_f64 v[128:129], v[32:33], v[92:93]
	s_mov_b32 s1, 0x3fedd6d0
	v_mul_f64 v[126:127], v[96:97], s[24:25]
	s_mov_b32 s6, 0x75d4884
	v_mul_f64 v[2:3], v[98:99], s[26:27]
	v_add_f64 v[100:101], v[32:33], -v[92:93]
	v_fma_f64 v[0:1], s[0:1], v[128:129], v[126:127]
	s_mov_b32 s7, 0x3fe7a5f6
	v_add_f64 v[140:141], v[36:37], v[88:89]
	v_accvgpr_write_b32 a35, v3
	v_add_f64 v[102:103], v[36:37], -v[88:89]
	v_add_f64 v[130:131], v[34:35], v[94:95]
	v_mul_f64 v[138:139], v[100:101], s[24:25]
	v_add_f64 v[0:1], v[28:29], v[0:1]
	v_accvgpr_write_b32 a34, v2
	v_fma_f64 v[2:3], s[6:7], v[140:141], v[2:3]
	v_mul_f64 v[4:5], v[102:103], s[26:27]
	v_add_f64 v[0:1], v[2:3], v[0:1]
	v_fma_f64 v[2:3], v[130:131], s[0:1], -v[138:139]
	v_add_f64 v[142:143], v[38:39], v[90:91]
	v_accvgpr_write_b32 a37, v5
	s_mov_b32 s30, 0x7c9e640b
	v_add_f64 v[2:3], v[30:31], v[2:3]
	v_accvgpr_write_b32 a36, v4
	v_fma_f64 v[4:5], v[142:143], s[6:7], -v[4:5]
	s_mov_b32 s31, 0xbfeca52d
	v_add_f64 v[106:107], v[42:43], -v[86:87]
	v_add_f64 v[2:3], v[4:5], v[2:3]
	s_mov_b32 s10, 0x2b2883cd
	v_mul_f64 v[4:5], v[106:107], s[30:31]
	s_mov_b32 s11, 0x3fdc86fa
	v_add_f64 v[148:149], v[40:41], v[84:85]
	v_accvgpr_write_b32 a39, v5
	v_accvgpr_write_b32 a38, v4
	v_fma_f64 v[4:5], s[10:11], v[148:149], v[4:5]
	v_add_f64 v[104:105], v[40:41], -v[84:85]
	v_add_f64 v[0:1], v[4:5], v[0:1]
	v_mul_f64 v[4:5], v[104:105], s[30:31]
	v_add_f64 v[150:151], v[42:43], v[86:87]
	v_accvgpr_write_b32 a41, v5
	s_mov_b32 s34, 0xeb564b22
	v_accvgpr_write_b32 a40, v4
	v_fma_f64 v[4:5], v[150:151], s[10:11], -v[4:5]
	s_mov_b32 s35, 0xbfefdd0d
	v_add_f64 v[110:111], v[46:47], -v[82:83]
	v_add_f64 v[2:3], v[4:5], v[2:3]
	s_mov_b32 s14, 0x3259b75e
	v_mul_f64 v[4:5], v[110:111], s[34:35]
	s_mov_b32 s15, 0x3fb79ee6
	v_add_f64 v[154:155], v[44:45], v[80:81]
	v_accvgpr_write_b32 a43, v5
	v_accvgpr_write_b32 a42, v4
	v_fma_f64 v[4:5], s[14:15], v[154:155], v[4:5]
	v_add_f64 v[108:109], v[44:45], -v[80:81]
	v_add_f64 v[0:1], v[4:5], v[0:1]
	v_mul_f64 v[4:5], v[108:109], s[34:35]
	v_add_f64 v[156:157], v[46:47], v[82:83]
	v_accvgpr_write_b32 a45, v5
	s_mov_b32 s36, 0x923c349f
	;; [unrolled: 18-line block ×5, first 2 shown]
	v_accvgpr_write_b32 a56, v4
	v_fma_f64 v[4:5], v[184:185], s[20:21], -v[4:5]
	s_mov_b32 s43, 0xbfc7851a
	v_add_f64 v[206:207], v[62:63], -v[66:67]
	v_add_f64 v[2:3], v[4:5], v[2:3]
	s_mov_b32 s22, 0x7faef3
	v_mul_f64 v[4:5], v[206:207], s[42:43]
	s_mov_b32 s23, 0xbfef7484
	v_add_f64 v[196:197], v[60:61], v[64:65]
	v_accvgpr_write_b32 a59, v5
	v_accvgpr_write_b32 a58, v4
	v_fma_f64 v[4:5], s[22:23], v[196:197], v[4:5]
	v_add_f64 v[202:203], v[60:61], -v[64:65]
	v_add_f64 v[4:5], v[4:5], v[0:1]
	v_mul_f64 v[0:1], v[202:203], s[42:43]
	v_add_f64 v[204:205], v[62:63], v[66:67]
	v_accvgpr_write_b32 a61, v1
	v_accvgpr_write_b32 a60, v0
	v_fma_f64 v[0:1], v[204:205], s[22:23], -v[0:1]
	v_add_f64 v[6:7], v[0:1], v[2:3]
	v_mul_f64 v[0:1], v[96:97], s[26:27]
	v_accvgpr_write_b32 a63, v1
	v_mul_f64 v[2:3], v[98:99], s[34:35]
	v_accvgpr_write_b32 a62, v0
	v_fma_f64 v[0:1], s[6:7], v[128:129], v[0:1]
	v_accvgpr_write_b32 a65, v3
	v_add_f64 v[0:1], v[28:29], v[0:1]
	v_accvgpr_write_b32 a64, v2
	v_fma_f64 v[2:3], s[14:15], v[140:141], v[2:3]
	v_accvgpr_write_b32 a11, v7
	v_add_f64 v[0:1], v[2:3], v[0:1]
	v_mul_f64 v[2:3], v[100:101], s[26:27]
	v_accvgpr_write_b32 a10, v6
	v_accvgpr_write_b32 a9, v5
	;; [unrolled: 1-line block ×4, first 2 shown]
	v_mul_f64 v[4:5], v[102:103], s[34:35]
	v_accvgpr_write_b32 a70, v2
	v_fma_f64 v[2:3], v[130:131], s[6:7], -v[2:3]
	v_accvgpr_write_b32 a73, v5
	v_add_f64 v[2:3], v[30:31], v[2:3]
	v_accvgpr_write_b32 a72, v4
	v_fma_f64 v[4:5], v[142:143], s[14:15], -v[4:5]
	v_add_f64 v[2:3], v[4:5], v[2:3]
	v_mul_f64 v[4:5], v[106:107], s[38:39]
	v_accvgpr_write_b32 a67, v5
	v_accvgpr_write_b32 a66, v4
	v_fma_f64 v[4:5], s[18:19], v[148:149], v[4:5]
	v_add_f64 v[0:1], v[4:5], v[0:1]
	v_mul_f64 v[4:5], v[104:105], s[38:39]
	v_accvgpr_write_b32 a77, v5
	v_accvgpr_write_b32 a76, v4
	v_fma_f64 v[4:5], v[150:151], s[18:19], -v[4:5]
	v_add_f64 v[2:3], v[4:5], v[2:3]
	v_mul_f64 v[4:5], v[110:111], s[42:43]
	v_accvgpr_write_b32 a69, v5
	v_accvgpr_write_b32 a68, v4
	v_fma_f64 v[4:5], s[22:23], v[154:155], v[4:5]
	v_add_f64 v[0:1], v[4:5], v[0:1]
	v_mul_f64 v[4:5], v[108:109], s[42:43]
	v_accvgpr_write_b32 a81, v5
	v_accvgpr_write_b32 a80, v4
	v_fma_f64 v[4:5], v[156:157], s[22:23], -v[4:5]
	s_mov_b32 s53, 0x3fe0d888
	s_mov_b32 s52, s40
	v_add_f64 v[2:3], v[4:5], v[2:3]
	v_mul_f64 v[4:5], v[114:115], s[52:53]
	v_accvgpr_write_b32 a75, v5
	v_accvgpr_write_b32 a74, v4
	v_fma_f64 v[4:5], s[20:21], v[162:163], v[4:5]
	v_add_f64 v[0:1], v[4:5], v[0:1]
	v_mul_f64 v[4:5], v[112:113], s[52:53]
	v_accvgpr_write_b32 a85, v5
	v_accvgpr_write_b32 a84, v4
	v_fma_f64 v[4:5], v[164:165], s[20:21], -v[4:5]
	s_mov_b32 s51, 0x3feec746
	s_mov_b32 s50, s36
	;; [unrolled: 12-line block ×4, first 2 shown]
	v_add_f64 v[2:3], v[4:5], v[2:3]
	v_mul_f64 v[4:5], v[206:207], s[46:47]
	v_accvgpr_write_b32 a87, v5
	v_accvgpr_write_b32 a86, v4
	v_fma_f64 v[4:5], s[0:1], v[196:197], v[4:5]
	v_add_f64 v[158:159], v[4:5], v[0:1]
	v_mul_f64 v[0:1], v[202:203], s[46:47]
	v_accvgpr_write_b32 a93, v1
	v_accvgpr_write_b32 a92, v0
	v_fma_f64 v[0:1], v[204:205], s[0:1], -v[0:1]
	v_add_f64 v[160:161], v[0:1], v[2:3]
	v_mul_f64 v[0:1], v[96:97], s[30:31]
	v_accvgpr_write_b32 a95, v1
	v_mul_f64 v[2:3], v[98:99], s[38:39]
	v_accvgpr_write_b32 a94, v0
	v_fma_f64 v[0:1], s[10:11], v[128:129], v[0:1]
	v_accvgpr_write_b32 a97, v3
	v_add_f64 v[0:1], v[28:29], v[0:1]
	v_accvgpr_write_b32 a96, v2
	v_fma_f64 v[2:3], s[18:19], v[140:141], v[2:3]
	v_add_f64 v[0:1], v[2:3], v[0:1]
	v_mul_f64 v[2:3], v[100:101], s[30:31]
	v_accvgpr_write_b32 a109, v3
	v_mul_f64 v[4:5], v[102:103], s[38:39]
	v_accvgpr_write_b32 a108, v2
	v_fma_f64 v[2:3], v[130:131], s[10:11], -v[2:3]
	v_accvgpr_write_b32 a111, v5
	v_add_f64 v[2:3], v[30:31], v[2:3]
	v_accvgpr_write_b32 a110, v4
	v_fma_f64 v[4:5], v[142:143], s[18:19], -v[4:5]
	s_mov_b32 s55, 0x3fc7851a
	s_mov_b32 s54, s42
	v_add_f64 v[2:3], v[4:5], v[2:3]
	v_mul_f64 v[4:5], v[106:107], s[54:55]
	v_accvgpr_write_b32 a99, v5
	v_accvgpr_write_b32 a98, v4
	v_fma_f64 v[4:5], s[22:23], v[148:149], v[4:5]
	v_add_f64 v[0:1], v[4:5], v[0:1]
	v_mul_f64 v[4:5], v[104:105], s[54:55]
	v_accvgpr_write_b32 a115, v5
	v_accvgpr_write_b32 a114, v4
	v_fma_f64 v[4:5], v[150:151], s[22:23], -v[4:5]
	v_add_f64 v[2:3], v[4:5], v[2:3]
	v_mul_f64 v[4:5], v[110:111], s[50:51]
	v_accvgpr_write_b32 a101, v5
	v_accvgpr_write_b32 a100, v4
	v_fma_f64 v[4:5], s[16:17], v[154:155], v[4:5]
	v_add_f64 v[0:1], v[4:5], v[0:1]
	v_mul_f64 v[4:5], v[108:109], s[50:51]
	v_accvgpr_write_b32 a117, v5
	v_accvgpr_write_b32 a116, v4
	v_fma_f64 v[4:5], v[156:157], s[16:17], -v[4:5]
	s_mov_b32 s49, 0x3fe58eea
	s_mov_b32 s48, s26
	v_add_f64 v[2:3], v[4:5], v[2:3]
	v_mul_f64 v[4:5], v[114:115], s[48:49]
	v_accvgpr_write_b32 a103, v5
	v_accvgpr_write_b32 a102, v4
	v_fma_f64 v[4:5], s[6:7], v[162:163], v[4:5]
	v_add_f64 v[0:1], v[4:5], v[0:1]
	v_mul_f64 v[4:5], v[112:113], s[48:49]
	v_accvgpr_write_b32 a119, v5
	v_accvgpr_write_b32 a118, v4
	v_fma_f64 v[4:5], v[164:165], s[6:7], -v[4:5]
	v_add_f64 v[2:3], v[4:5], v[2:3]
	v_mul_f64 v[4:5], v[136:137], s[24:25]
	v_accvgpr_write_b32 a105, v5
	v_accvgpr_write_b32 a104, v4
	v_fma_f64 v[4:5], s[0:1], v[168:169], v[4:5]
	v_add_f64 v[0:1], v[4:5], v[0:1]
	v_mul_f64 v[4:5], v[122:123], s[24:25]
	v_accvgpr_write_b32 a121, v5
	v_accvgpr_write_b32 a120, v4
	v_fma_f64 v[4:5], v[170:171], s[0:1], -v[4:5]
	;; [unrolled: 10-line block ×4, first 2 shown]
	v_add_f64 v[6:7], v[0:1], v[2:3]
	v_mul_f64 v[0:1], v[96:97], s[34:35]
	v_accvgpr_write_b32 a127, v1
	v_mul_f64 v[2:3], v[98:99], s[42:43]
	v_accvgpr_write_b32 a126, v0
	v_fma_f64 v[0:1], s[14:15], v[128:129], v[0:1]
	v_accvgpr_write_b32 a129, v3
	v_add_f64 v[0:1], v[28:29], v[0:1]
	v_accvgpr_write_b32 a128, v2
	v_fma_f64 v[2:3], s[22:23], v[140:141], v[2:3]
	v_accvgpr_write_b32 a15, v7
	v_add_f64 v[0:1], v[2:3], v[0:1]
	v_mul_f64 v[2:3], v[100:101], s[34:35]
	v_accvgpr_write_b32 a14, v6
	v_accvgpr_write_b32 a13, v5
	;; [unrolled: 1-line block ×4, first 2 shown]
	v_mul_f64 v[4:5], v[102:103], s[42:43]
	v_accvgpr_write_b32 a134, v2
	v_fma_f64 v[2:3], v[130:131], s[14:15], -v[2:3]
	v_accvgpr_write_b32 a139, v5
	v_add_f64 v[2:3], v[30:31], v[2:3]
	v_accvgpr_write_b32 a138, v4
	v_fma_f64 v[4:5], v[142:143], s[22:23], -v[4:5]
	v_add_f64 v[2:3], v[4:5], v[2:3]
	v_mul_f64 v[4:5], v[106:107], s[50:51]
	v_accvgpr_write_b32 a131, v5
	v_accvgpr_write_b32 a130, v4
	v_fma_f64 v[4:5], s[16:17], v[148:149], v[4:5]
	v_add_f64 v[0:1], v[4:5], v[0:1]
	v_mul_f64 v[4:5], v[104:105], s[50:51]
	v_accvgpr_write_b32 a143, v5
	v_accvgpr_write_b32 a142, v4
	v_fma_f64 v[4:5], v[150:151], s[16:17], -v[4:5]
	v_add_f64 v[2:3], v[4:5], v[2:3]
	v_mul_f64 v[4:5], v[110:111], s[46:47]
	v_accvgpr_write_b32 a133, v5
	v_accvgpr_write_b32 a132, v4
	v_fma_f64 v[4:5], s[0:1], v[154:155], v[4:5]
	v_add_f64 v[0:1], v[4:5], v[0:1]
	v_mul_f64 v[4:5], v[108:109], s[46:47]
	v_accvgpr_write_b32 a147, v5
	v_accvgpr_write_b32 a146, v4
	v_fma_f64 v[4:5], v[156:157], s[0:1], -v[4:5]
	v_add_f64 v[2:3], v[4:5], v[2:3]
	v_mul_f64 v[4:5], v[114:115], s[30:31]
	v_accvgpr_write_b32 a137, v5
	v_accvgpr_write_b32 a136, v4
	v_fma_f64 v[4:5], s[10:11], v[162:163], v[4:5]
	v_add_f64 v[0:1], v[4:5], v[0:1]
	v_mul_f64 v[4:5], v[112:113], s[30:31]
	v_accvgpr_write_b32 a151, v5
	v_accvgpr_write_b32 a150, v4
	v_fma_f64 v[4:5], v[164:165], s[10:11], -v[4:5]
	v_add_f64 v[2:3], v[4:5], v[2:3]
	v_mul_f64 v[4:5], v[136:137], s[40:41]
	v_accvgpr_write_b32 a141, v5
	v_accvgpr_write_b32 a140, v4
	v_fma_f64 v[4:5], s[20:21], v[168:169], v[4:5]
	v_add_f64 v[0:1], v[4:5], v[0:1]
	v_mul_f64 v[4:5], v[122:123], s[40:41]
	v_accvgpr_write_b32 a153, v5
	v_accvgpr_write_b32 a152, v4
	v_fma_f64 v[4:5], v[170:171], s[20:21], -v[4:5]
	s_mov_b32 s59, 0x3fe9895b
	s_mov_b32 s58, s38
	v_add_f64 v[2:3], v[4:5], v[2:3]
	v_mul_f64 v[4:5], v[186:187], s[58:59]
	v_accvgpr_write_b32 a145, v5
	v_accvgpr_write_b32 a144, v4
	v_fma_f64 v[4:5], s[18:19], v[182:183], v[4:5]
	v_mul_f64 v[166:167], v[172:173], s[58:59]
	v_add_f64 v[0:1], v[4:5], v[0:1]
	v_fma_f64 v[4:5], v[184:185], s[18:19], -v[166:167]
	v_add_f64 v[2:3], v[4:5], v[2:3]
	v_mul_f64 v[4:5], v[206:207], s[48:49]
	v_accvgpr_write_b32 a149, v5
	v_accvgpr_write_b32 a148, v4
	v_fma_f64 v[4:5], s[6:7], v[196:197], v[4:5]
	v_mul_f64 v[174:175], v[202:203], s[48:49]
	v_add_f64 v[4:5], v[4:5], v[0:1]
	v_fma_f64 v[0:1], v[204:205], s[6:7], -v[174:175]
	v_mul_f64 v[188:189], v[96:97], s[36:37]
	v_add_f64 v[6:7], v[0:1], v[2:3]
	v_fma_f64 v[0:1], s[16:17], v[128:129], v[188:189]
	v_mul_f64 v[190:191], v[98:99], s[52:53]
	v_add_f64 v[0:1], v[28:29], v[0:1]
	v_fma_f64 v[2:3], s[20:21], v[140:141], v[190:191]
	v_mul_f64 v[198:199], v[100:101], s[36:37]
	v_accvgpr_write_b32 a19, v7
	v_add_f64 v[0:1], v[2:3], v[0:1]
	v_fma_f64 v[2:3], v[130:131], s[16:17], -v[198:199]
	v_mul_f64 v[208:209], v[102:103], s[52:53]
	v_accvgpr_write_b32 a18, v6
	v_accvgpr_write_b32 a17, v5
	;; [unrolled: 1-line block ×3, first 2 shown]
	v_add_f64 v[2:3], v[30:31], v[2:3]
	v_fma_f64 v[4:5], v[142:143], s[20:21], -v[208:209]
	v_mul_f64 v[192:193], v[106:107], s[48:49]
	v_add_f64 v[2:3], v[4:5], v[2:3]
	v_fma_f64 v[4:5], s[6:7], v[148:149], v[192:193]
	v_mul_f64 v[212:213], v[104:105], s[48:49]
	v_add_f64 v[0:1], v[4:5], v[0:1]
	v_fma_f64 v[4:5], v[150:151], s[6:7], -v[212:213]
	v_mul_f64 v[194:195], v[110:111], s[30:31]
	v_add_f64 v[2:3], v[4:5], v[2:3]
	v_fma_f64 v[4:5], s[10:11], v[154:155], v[194:195]
	v_mul_f64 v[216:217], v[108:109], s[30:31]
	;; [unrolled: 6-line block ×3, first 2 shown]
	s_mov_b32 s57, 0x3fefdd0d
	s_mov_b32 s56, s34
	v_add_f64 v[0:1], v[4:5], v[0:1]
	v_fma_f64 v[4:5], v[164:165], s[22:23], -v[220:221]
	v_mul_f64 v[210:211], v[136:137], s[56:57]
	v_add_f64 v[2:3], v[4:5], v[2:3]
	v_fma_f64 v[4:5], s[14:15], v[168:169], v[210:211]
	v_mul_f64 v[222:223], v[122:123], s[56:57]
	v_add_f64 v[0:1], v[4:5], v[0:1]
	v_fma_f64 v[4:5], v[170:171], s[14:15], -v[222:223]
	v_mul_f64 v[214:215], v[186:187], s[24:25]
	v_add_f64 v[2:3], v[4:5], v[2:3]
	v_fma_f64 v[4:5], s[0:1], v[182:183], v[214:215]
	v_mul_f64 v[224:225], v[172:173], s[24:25]
	;; [unrolled: 6-line block ×3, first 2 shown]
	v_add_f64 v[4:5], v[4:5], v[0:1]
	v_fma_f64 v[0:1], v[204:205], s[18:19], -v[226:227]
	v_add_f64 v[6:7], v[0:1], v[2:3]
	v_mul_f64 v[0:1], v[96:97], s[38:39]
	v_accvgpr_write_b32 a23, v7
	v_fma_f64 v[2:3], s[18:19], v[128:129], v[0:1]
	v_accvgpr_write_b32 a22, v6
	v_accvgpr_write_b32 a21, v5
	;; [unrolled: 1-line block ×3, first 2 shown]
	v_add_f64 v[4:5], v[28:29], v[2:3]
	v_mul_f64 v[2:3], v[98:99], s[50:51]
	v_fma_f64 v[6:7], s[16:17], v[140:141], v[2:3]
	v_add_f64 v[4:5], v[6:7], v[4:5]
	v_mul_f64 v[6:7], v[100:101], s[38:39]
	v_fma_f64 v[8:9], v[130:131], s[18:19], -v[6:7]
	v_add_f64 v[10:11], v[30:31], v[8:9]
	v_mul_f64 v[8:9], v[102:103], s[50:51]
	v_fma_f64 v[12:13], v[142:143], s[16:17], -v[8:9]
	v_mul_f64 v[228:229], v[106:107], s[24:25]
	v_add_f64 v[10:11], v[12:13], v[10:11]
	v_fma_f64 v[12:13], s[0:1], v[148:149], v[228:229]
	v_add_f64 v[14:15], v[12:13], v[4:5]
	v_mul_f64 v[12:13], v[104:105], s[24:25]
	v_fma_f64 v[4:5], v[150:151], s[0:1], -v[12:13]
	v_add_f64 v[10:11], v[4:5], v[10:11]
	v_mul_f64 v[4:5], v[110:111], s[40:41]
	v_fma_f64 v[16:17], s[20:21], v[154:155], v[4:5]
	v_mul_f64 v[232:233], v[108:109], s[40:41]
	v_add_f64 v[14:15], v[16:17], v[14:15]
	v_fma_f64 v[16:17], v[156:157], s[20:21], -v[232:233]
	v_mul_f64 v[230:231], v[114:115], s[56:57]
	v_add_f64 v[10:11], v[16:17], v[10:11]
	v_fma_f64 v[16:17], s[14:15], v[162:163], v[230:231]
	v_mul_f64 v[18:19], v[112:113], s[56:57]
	v_add_f64 v[14:15], v[16:17], v[14:15]
	v_fma_f64 v[16:17], v[164:165], s[14:15], -v[18:19]
	v_add_f64 v[16:17], v[16:17], v[10:11]
	v_mul_f64 v[10:11], v[136:137], s[26:27]
	v_fma_f64 v[20:21], s[6:7], v[168:169], v[10:11]
	v_mul_f64 v[234:235], v[122:123], s[26:27]
	v_add_f64 v[20:21], v[20:21], v[14:15]
	v_fma_f64 v[14:15], v[170:171], s[6:7], -v[234:235]
	v_add_f64 v[16:17], v[14:15], v[16:17]
	v_mul_f64 v[14:15], v[186:187], s[42:43]
	;; [unrolled: 6-line block ×3, first 2 shown]
	v_fma_f64 v[24:25], s[10:11], v[196:197], v[16:17]
	v_add_f64 v[116:117], v[24:25], v[20:21]
	v_mul_f64 v[20:21], v[202:203], s[44:45]
	v_fma_f64 v[24:25], v[204:205], s[10:11], -v[20:21]
	v_add_f64 v[118:119], v[24:25], v[22:23]
	v_mul_f64 v[22:23], v[96:97], s[40:41]
	v_fma_f64 v[24:25], s[20:21], v[128:129], v[22:23]
	v_mul_f64 v[238:239], v[98:99], s[44:45]
	v_add_f64 v[24:25], v[28:29], v[24:25]
	v_fma_f64 v[26:27], s[10:11], v[140:141], v[238:239]
	v_accvgpr_write_b32 a24, v116
	v_add_f64 v[26:27], v[26:27], v[24:25]
	v_mul_f64 v[24:25], v[100:101], s[40:41]
	v_accvgpr_write_b32 a25, v117
	v_accvgpr_write_b32 a26, v118
	;; [unrolled: 1-line block ×3, first 2 shown]
	v_fma_f64 v[116:117], v[130:131], s[20:21], -v[24:25]
	v_mul_f64 v[242:243], v[102:103], s[44:45]
	v_add_f64 v[116:117], v[30:31], v[116:117]
	v_fma_f64 v[118:119], v[142:143], s[10:11], -v[242:243]
	v_mul_f64 v[240:241], v[106:107], s[34:35]
	v_add_f64 v[116:117], v[118:119], v[116:117]
	v_fma_f64 v[118:119], s[14:15], v[148:149], v[240:241]
	v_mul_f64 v[180:181], v[104:105], s[34:35]
	v_add_f64 v[26:27], v[118:119], v[26:27]
	v_fma_f64 v[118:119], v[150:151], s[14:15], -v[180:181]
	v_mul_f64 v[176:177], v[110:111], s[58:59]
	v_add_f64 v[116:117], v[118:119], v[116:117]
	v_fma_f64 v[118:119], s[18:19], v[154:155], v[176:177]
	v_mul_f64 v[248:249], v[108:109], s[58:59]
	v_add_f64 v[118:119], v[118:119], v[26:27]
	v_fma_f64 v[26:27], v[156:157], s[18:19], -v[248:249]
	v_add_f64 v[116:117], v[26:27], v[116:117]
	v_mul_f64 v[26:27], v[114:115], s[24:25]
	v_fma_f64 v[244:245], s[0:1], v[162:163], v[26:27]
	v_mul_f64 v[252:253], v[112:113], s[24:25]
	v_add_f64 v[118:119], v[244:245], v[118:119]
	v_fma_f64 v[244:245], v[164:165], s[0:1], -v[252:253]
	v_add_f64 v[246:247], v[244:245], v[116:117]
	v_mul_f64 v[244:245], v[136:137], s[42:43]
	v_fma_f64 v[116:117], s[22:23], v[168:169], v[244:245]
	v_add_f64 v[118:119], v[116:117], v[118:119]
	v_mul_f64 v[116:117], v[122:123], s[42:43]
	v_fma_f64 v[250:251], v[170:171], s[22:23], -v[116:117]
	v_add_f64 v[250:251], v[250:251], v[246:247]
	v_mul_f64 v[246:247], v[186:187], s[48:49]
	v_fma_f64 v[254:255], s[6:7], v[182:183], v[246:247]
	v_add_f64 v[254:255], v[254:255], v[118:119]
	v_mul_f64 v[118:119], v[172:173], s[48:49]
	v_fma_f64 v[120:121], v[184:185], s[6:7], -v[118:119]
	v_add_f64 v[120:121], v[120:121], v[250:251]
	v_mul_f64 v[250:251], v[206:207], s[36:37]
	v_fma_f64 v[124:125], s[16:17], v[196:197], v[250:251]
	v_add_f64 v[132:133], v[124:125], v[254:255]
	v_mul_f64 v[254:255], v[202:203], s[36:37]
	v_fma_f64 v[124:125], v[204:205], s[16:17], -v[254:255]
	v_add_f64 v[134:135], v[124:125], v[120:121]
	v_accvgpr_write_b32 a28, v132
	v_mul_lo_u16_e32 v120, 17, v144
	v_accvgpr_write_b32 a29, v133
	v_accvgpr_write_b32 a30, v134
	;; [unrolled: 1-line block ×4, first 2 shown]
	s_barrier
	s_and_saveexec_b64 s[28:29], vcc
	s_cbranch_execz .LBB0_7
; %bb.6:
	v_mul_f64 v[120:121], v[130:131], s[22:23]
	v_accvgpr_write_b32 a155, v127
	v_fma_f64 v[124:125], s[54:55], v[100:101], v[120:121]
	v_accvgpr_write_b32 a154, v126
	v_mul_f64 v[126:127], v[142:143], s[0:1]
	v_add_f64 v[124:125], v[30:31], v[124:125]
	v_fma_f64 v[132:133], s[24:25], v[102:103], v[126:127]
	v_add_f64 v[124:125], v[132:133], v[124:125]
	v_mul_f64 v[132:133], v[150:151], s[20:21]
	v_fma_f64 v[134:135], s[52:53], v[104:105], v[132:133]
	v_add_f64 v[124:125], v[134:135], v[124:125]
	v_mul_f64 v[134:135], v[156:157], s[6:7]
	v_accvgpr_write_b32 a157, v139
	v_accvgpr_write_b32 a156, v138
	v_fma_f64 v[138:139], s[26:27], v[108:109], v[134:135]
	v_add_f64 v[124:125], v[138:139], v[124:125]
	v_mul_f64 v[138:139], v[164:165], s[18:19]
	v_accvgpr_write_b32 a0, v144
	v_accvgpr_write_b32 a1, v145
	v_fma_f64 v[144:145], s[58:59], v[112:113], v[138:139]
	v_add_f64 v[124:125], v[144:145], v[124:125]
	v_mul_f64 v[144:145], v[170:171], s[10:11]
	v_accvgpr_mov_b32 a4, a8
	v_accvgpr_write_b32 a2, v146
	v_mov_b32_e32 v179, v147
	v_fma_f64 v[146:147], s[30:31], v[122:123], v[144:145]
	v_accvgpr_mov_b32 a5, a9
	v_accvgpr_mov_b32 a6, a10
	;; [unrolled: 1-line block ×3, first 2 shown]
	v_add_f64 v[124:125], v[146:147], v[124:125]
	v_mul_f64 v[146:147], v[184:185], s[16:17]
	v_accvgpr_write_b32 a8, v158
	v_accvgpr_write_b32 a32, v152
	v_fma_f64 v[152:153], s[50:51], v[172:173], v[146:147]
	v_accvgpr_write_b32 a9, v159
	v_accvgpr_write_b32 a10, v160
	;; [unrolled: 1-line block ×3, first 2 shown]
	v_mul_f64 v[158:159], v[96:97], s[42:43]
	v_add_f64 v[124:125], v[152:153], v[124:125]
	v_mul_f64 v[152:153], v[98:99], s[46:47]
	v_fma_f64 v[96:97], s[22:23], v[128:129], v[158:159]
	v_fmac_f64_e32 v[132:133], s[40:41], v[104:105]
	v_fma_f64 v[104:105], v[128:129], s[22:23], -v[158:159]
	v_add_f64 v[96:97], v[28:29], v[96:97]
	v_fma_f64 v[98:99], s[0:1], v[140:141], v[152:153]
	v_mul_f64 v[106:107], v[106:107], s[40:41]
	v_fmac_f64_e32 v[126:127], s[46:47], v[102:103]
	v_fma_f64 v[102:103], v[140:141], s[0:1], -v[152:153]
	v_add_f64 v[104:105], v[28:29], v[104:105]
	v_add_f64 v[96:97], v[98:99], v[96:97]
	v_fma_f64 v[98:99], s[20:21], v[148:149], v[106:107]
	v_add_f64 v[102:103], v[102:103], v[104:105]
	v_fma_f64 v[104:105], v[148:149], s[20:21], -v[106:107]
	v_mul_f64 v[106:107], v[184:185], s[6:7]
	v_mul_f64 v[110:111], v[110:111], s[48:49]
	v_fmac_f64_e32 v[134:135], s[48:49], v[108:109]
	v_add_f64 v[106:107], v[118:119], v[106:107]
	v_mul_f64 v[108:109], v[170:171], s[22:23]
	v_mul_f64 v[118:119], v[130:131], s[20:21]
	v_add_f64 v[96:97], v[98:99], v[96:97]
	v_fma_f64 v[98:99], s[6:7], v[154:155], v[110:111]
	v_mul_f64 v[114:115], v[114:115], s[38:39]
	v_fmac_f64_e32 v[120:121], s[42:43], v[100:101]
	v_add_f64 v[102:103], v[104:105], v[102:103]
	v_fma_f64 v[104:105], v[154:155], s[6:7], -v[110:111]
	v_add_f64 v[108:109], v[116:117], v[108:109]
	v_mul_f64 v[116:117], v[142:143], s[10:11]
	v_add_f64 v[24:25], v[24:25], v[118:119]
	v_add_f64 v[96:97], v[98:99], v[96:97]
	v_fma_f64 v[98:99], s[18:19], v[162:163], v[114:115]
	v_add_f64 v[100:101], v[30:31], v[120:121]
	v_add_f64 v[102:103], v[104:105], v[102:103]
	v_fma_f64 v[104:105], v[162:163], s[18:19], -v[114:115]
	v_mul_f64 v[114:115], v[150:151], s[14:15]
	v_add_f64 v[116:117], v[242:243], v[116:117]
	v_add_f64 v[24:25], v[30:31], v[24:25]
	v_fmac_f64_e32 v[138:139], s[38:39], v[112:113]
	v_add_f64 v[100:101], v[126:127], v[100:101]
	v_mul_f64 v[112:113], v[156:157], s[18:19]
	v_add_f64 v[114:115], v[180:181], v[114:115]
	v_add_f64 v[24:25], v[116:117], v[24:25]
	v_mul_f64 v[118:119], v[128:129], s[20:21]
	v_mul_f64 v[136:137], v[136:137], s[44:45]
	v_add_f64 v[100:101], v[132:133], v[100:101]
	v_mul_f64 v[110:111], v[164:165], s[0:1]
	v_add_f64 v[112:113], v[248:249], v[112:113]
	v_add_f64 v[24:25], v[114:115], v[24:25]
	v_mul_f64 v[116:117], v[140:141], s[10:11]
	v_add_f64 v[22:23], v[118:119], -v[22:23]
	v_add_f64 v[96:97], v[98:99], v[96:97]
	v_fma_f64 v[98:99], s[10:11], v[168:169], v[136:137]
	v_mul_f64 v[186:187], v[186:187], s[36:37]
	v_add_f64 v[100:101], v[134:135], v[100:101]
	v_add_f64 v[110:111], v[252:253], v[110:111]
	;; [unrolled: 1-line block ×3, first 2 shown]
	v_mul_f64 v[112:113], v[162:163], s[0:1]
	v_mul_f64 v[114:115], v[148:149], s[14:15]
	v_add_f64 v[116:117], v[116:117], -v[238:239]
	v_add_f64 v[22:23], v[28:29], v[22:23]
	v_add_f64 v[96:97], v[98:99], v[96:97]
	v_fma_f64 v[98:99], s[16:17], v[182:183], v[186:187]
	v_mul_f64 v[160:161], v[204:205], s[14:15]
	v_fmac_f64_e32 v[144:145], s[44:45], v[122:123]
	v_add_f64 v[100:101], v[138:139], v[100:101]
	v_add_f64 v[24:25], v[110:111], v[24:25]
	v_add_f64 v[26:27], v[112:113], -v[26:27]
	v_mul_f64 v[112:113], v[154:155], s[18:19]
	v_add_f64 v[114:115], v[114:115], -v[240:241]
	v_add_f64 v[22:23], v[116:117], v[22:23]
	v_add_f64 v[96:97], v[98:99], v[96:97]
	v_fma_f64 v[98:99], s[34:35], v[202:203], v[160:161]
	v_fmac_f64_e32 v[146:147], s[36:37], v[172:173]
	v_add_f64 v[100:101], v[144:145], v[100:101]
	v_add_f64 v[102:103], v[104:105], v[102:103]
	v_fma_f64 v[104:105], v[168:169], s[10:11], -v[136:137]
	v_add_f64 v[24:25], v[108:109], v[24:25]
	v_add_f64 v[112:113], v[112:113], -v[176:177]
	v_add_f64 v[22:23], v[114:115], v[22:23]
	v_add_f64 v[98:99], v[98:99], v[124:125]
	v_mul_f64 v[124:125], v[206:207], s[56:57]
	v_fmac_f64_e32 v[160:161], s[56:57], v[202:203]
	v_add_f64 v[100:101], v[146:147], v[100:101]
	v_add_f64 v[102:103], v[104:105], v[102:103]
	v_fma_f64 v[104:105], v[182:183], s[16:17], -v[186:187]
	v_add_f64 v[24:25], v[106:107], v[24:25]
	v_mul_f64 v[106:107], v[196:197], s[16:17]
	v_mul_f64 v[110:111], v[168:169], s[22:23]
	v_add_f64 v[22:23], v[112:113], v[22:23]
	v_add_f64 v[104:105], v[104:105], v[102:103]
	;; [unrolled: 1-line block ×3, first 2 shown]
	v_fma_f64 v[100:101], v[196:197], s[14:15], -v[124:125]
	v_add_f64 v[108:109], v[106:107], -v[250:251]
	v_mul_f64 v[106:107], v[182:183], s[6:7]
	v_add_f64 v[110:111], v[110:111], -v[244:245]
	v_add_f64 v[22:23], v[26:27], v[22:23]
	v_add_f64 v[100:101], v[100:101], v[104:105]
	v_mul_f64 v[104:105], v[204:205], s[16:17]
	v_add_f64 v[106:107], v[106:107], -v[246:247]
	v_add_f64 v[22:23], v[110:111], v[22:23]
	v_add_f64 v[104:105], v[254:255], v[104:105]
	;; [unrolled: 1-line block ×5, first 2 shown]
	v_mul_f64 v[108:109], v[150:151], s[0:1]
	v_add_f64 v[12:13], v[12:13], v[108:109]
	v_mul_f64 v[108:109], v[142:143], s[16:17]
	v_add_f64 v[8:9], v[8:9], v[108:109]
	;; [unrolled: 2-line block ×4, first 2 shown]
	v_add_f64 v[18:19], v[18:19], v[26:27]
	v_mul_f64 v[26:27], v[156:157], s[20:21]
	v_add_f64 v[6:7], v[8:9], v[6:7]
	v_add_f64 v[26:27], v[232:233], v[26:27]
	;; [unrolled: 1-line block ×5, first 2 shown]
	v_mul_f64 v[18:19], v[140:141], s[16:17]
	v_mul_f64 v[8:9], v[196:197], s[10:11]
	v_add_f64 v[2:3], v[18:19], -v[2:3]
	v_mul_f64 v[18:19], v[128:129], s[18:19]
	v_add_f64 v[8:9], v[8:9], -v[16:17]
	;; [unrolled: 2-line block ×4, first 2 shown]
	v_mul_f64 v[16:17], v[148:149], s[0:1]
	v_add_f64 v[0:1], v[28:29], v[0:1]
	v_add_f64 v[12:13], v[12:13], -v[14:15]
	v_mul_f64 v[14:15], v[168:169], s[6:7]
	v_add_f64 v[16:17], v[16:17], -v[228:229]
	v_add_f64 v[0:1], v[2:3], v[0:1]
	v_add_f64 v[10:11], v[14:15], -v[10:11]
	v_mul_f64 v[14:15], v[162:163], s[14:15]
	v_add_f64 v[0:1], v[16:17], v[0:1]
	v_add_f64 v[14:15], v[14:15], -v[230:231]
	v_add_f64 v[0:1], v[4:5], v[0:1]
	v_add_f64 v[0:1], v[14:15], v[0:1]
	v_mul_f64 v[22:23], v[204:205], s[10:11]
	v_mul_f64 v[24:25], v[170:171], s[6:7]
	v_add_f64 v[0:1], v[10:11], v[0:1]
	v_mul_f64 v[14:15], v[130:131], s[16:17]
	v_add_f64 v[20:21], v[20:21], v[22:23]
	;; [unrolled: 2-line block ×3, first 2 shown]
	v_add_f64 v[0:1], v[12:13], v[0:1]
	v_mul_f64 v[12:13], v[142:143], s[20:21]
	v_add_f64 v[14:15], v[198:199], v[14:15]
	v_mul_f64 v[18:19], v[128:129], s[16:17]
	v_add_f64 v[22:23], v[236:237], v[22:23]
	v_add_f64 v[6:7], v[24:25], v[6:7]
	v_mul_f64 v[10:11], v[150:151], s[6:7]
	v_add_f64 v[12:13], v[208:209], v[12:13]
	v_add_f64 v[14:15], v[30:31], v[14:15]
	v_mul_f64 v[16:17], v[140:141], s[20:21]
	v_add_f64 v[18:19], v[18:19], -v[188:189]
	v_add_f64 v[6:7], v[22:23], v[6:7]
	v_add_f64 v[108:109], v[8:9], v[0:1]
	v_mul_f64 v[8:9], v[156:157], s[10:11]
	v_add_f64 v[10:11], v[212:213], v[10:11]
	v_add_f64 v[12:13], v[12:13], v[14:15]
	v_mul_f64 v[14:15], v[148:149], s[6:7]
	v_add_f64 v[16:17], v[16:17], -v[190:191]
	;; [unrolled: 7-line block ×3, first 2 shown]
	v_add_f64 v[16:17], v[16:17], v[18:19]
	v_mul_f64 v[4:5], v[170:171], s[14:15]
	v_add_f64 v[6:7], v[220:221], v[6:7]
	v_add_f64 v[8:9], v[8:9], v[10:11]
	v_mul_f64 v[10:11], v[162:163], s[22:23]
	v_add_f64 v[12:13], v[12:13], -v[194:195]
	v_add_f64 v[14:15], v[14:15], v[16:17]
	v_mul_f64 v[2:3], v[184:185], s[0:1]
	v_add_f64 v[4:5], v[222:223], v[4:5]
	v_add_f64 v[6:7], v[6:7], v[8:9]
	v_mul_f64 v[8:9], v[168:169], s[14:15]
	v_add_f64 v[10:11], v[10:11], -v[200:201]
	v_add_f64 v[12:13], v[12:13], v[14:15]
	v_add_f64 v[2:3], v[224:225], v[2:3]
	;; [unrolled: 1-line block ×3, first 2 shown]
	v_mul_f64 v[6:7], v[182:183], s[0:1]
	v_add_f64 v[8:9], v[8:9], -v[210:211]
	v_add_f64 v[10:11], v[10:11], v[12:13]
	v_add_f64 v[2:3], v[2:3], v[4:5]
	v_mul_f64 v[4:5], v[196:197], s[18:19]
	v_add_f64 v[6:7], v[6:7], -v[214:215]
	v_add_f64 v[8:9], v[8:9], v[10:11]
	v_add_f64 v[4:5], v[4:5], -v[218:219]
	v_add_f64 v[6:7], v[6:7], v[8:9]
	v_add_f64 v[112:113], v[4:5], v[6:7]
	v_accvgpr_read_b32 v6, a152
	v_mul_f64 v[4:5], v[170:171], s[20:21]
	v_accvgpr_read_b32 v7, a153
	v_accvgpr_read_b32 v8, a150
	v_add_f64 v[4:5], v[6:7], v[4:5]
	v_mul_f64 v[6:7], v[164:165], s[10:11]
	v_accvgpr_read_b32 v9, a151
	v_accvgpr_read_b32 v10, a146
	v_add_f64 v[6:7], v[8:9], v[6:7]
	;; [unrolled: 4-line block ×5, first 2 shown]
	v_mul_f64 v[14:15], v[130:131], s[14:15]
	v_accvgpr_read_b32 v17, a135
	v_add_f64 v[14:15], v[16:17], v[14:15]
	v_add_f64 v[14:15], v[30:31], v[14:15]
	;; [unrolled: 1-line block ×3, first 2 shown]
	v_mul_f64 v[0:1], v[204:205], s[18:19]
	v_add_f64 v[10:11], v[10:11], v[12:13]
	v_add_f64 v[0:1], v[226:227], v[0:1]
	;; [unrolled: 1-line block ×4, first 2 shown]
	v_mul_f64 v[2:3], v[184:185], s[18:19]
	v_add_f64 v[6:7], v[6:7], v[8:9]
	v_add_f64 v[2:3], v[166:167], v[2:3]
	;; [unrolled: 1-line block ×3, first 2 shown]
	v_accvgpr_read_b32 v6, a148
	v_add_f64 v[2:3], v[2:3], v[4:5]
	v_mul_f64 v[4:5], v[196:197], s[6:7]
	v_accvgpr_read_b32 v7, a149
	v_accvgpr_read_b32 v8, a144
	v_add_f64 v[4:5], v[4:5], -v[6:7]
	v_mul_f64 v[6:7], v[182:183], s[18:19]
	v_accvgpr_read_b32 v9, a145
	v_accvgpr_read_b32 v10, a140
	v_add_f64 v[6:7], v[6:7], -v[8:9]
	;; [unrolled: 4-line block ×7, first 2 shown]
	v_mul_f64 v[18:19], v[128:129], s[14:15]
	v_accvgpr_read_b32 v21, a127
	v_add_f64 v[18:19], v[18:19], -v[20:21]
	v_add_f64 v[18:19], v[28:29], v[18:19]
	v_add_f64 v[16:17], v[16:17], v[18:19]
	;; [unrolled: 1-line block ×4, first 2 shown]
	v_mul_f64 v[0:1], v[204:205], s[6:7]
	v_add_f64 v[10:11], v[10:11], v[12:13]
	v_add_f64 v[0:1], v[174:175], v[0:1]
	;; [unrolled: 1-line block ×5, first 2 shown]
	v_accvgpr_read_b32 v2, a124
	v_add_f64 v[116:117], v[4:5], v[6:7]
	v_mul_f64 v[0:1], v[204:205], s[20:21]
	v_accvgpr_read_b32 v3, a125
	v_accvgpr_read_b32 v4, a122
	v_add_f64 v[0:1], v[2:3], v[0:1]
	v_mul_f64 v[2:3], v[184:185], s[14:15]
	v_accvgpr_read_b32 v5, a123
	;; [unrolled: 4-line block ×8, first 2 shown]
	v_add_f64 v[14:15], v[16:17], v[14:15]
	v_add_f64 v[14:15], v[30:31], v[14:15]
	;; [unrolled: 1-line block ×7, first 2 shown]
	v_accvgpr_read_b32 v26, a112
	v_add_f64 v[2:3], v[2:3], v[4:5]
	v_mul_f64 v[4:5], v[196:197], s[20:21]
	v_accvgpr_read_b32 v27, a113
	v_accvgpr_read_b32 v121, a107
	v_add_f64 v[4:5], v[4:5], -v[26:27]
	v_mul_f64 v[26:27], v[182:183], s[14:15]
	v_accvgpr_read_b32 v120, a106
	v_accvgpr_read_b32 v123, a105
	v_fma_f64 v[206:207], s[14:15], v[196:197], v[124:125]
	v_mul_f64 v[14:15], v[130:131], s[0:1]
	v_mul_f64 v[18:19], v[130:131], s[6:7]
	v_add_f64 v[26:27], v[26:27], -v[120:121]
	v_mul_f64 v[120:121], v[168:169], s[0:1]
	v_accvgpr_read_b32 v122, a104
	v_accvgpr_read_b32 v125, a103
	;; [unrolled: 1-line block ×3, first 2 shown]
	v_mul_f64 v[24:25], v[140:141], s[18:19]
	v_add_f64 v[120:121], v[120:121], -v[122:123]
	v_mul_f64 v[122:123], v[162:163], s[6:7]
	v_accvgpr_read_b32 v124, a102
	v_accvgpr_read_b32 v127, a101
	;; [unrolled: 1-line block ×4, first 2 shown]
	v_mul_f64 v[16:17], v[128:129], s[0:1]
	v_mul_f64 v[12:13], v[128:129], s[6:7]
	;; [unrolled: 1-line block ×3, first 2 shown]
	v_add_f64 v[122:123], v[122:123], -v[124:125]
	v_mul_f64 v[124:125], v[154:155], s[16:17]
	v_accvgpr_read_b32 v126, a100
	v_accvgpr_read_b32 v129, a99
	v_add_f64 v[24:25], v[24:25], -v[130:131]
	v_mul_f64 v[130:131], v[150:151], s[10:11]
	v_mul_f64 v[134:135], v[150:151], s[18:19]
	;; [unrolled: 1-line block ×3, first 2 shown]
	v_accvgpr_read_b32 v160, a90
	v_add_f64 v[124:125], v[124:125], -v[126:127]
	v_mul_f64 v[126:127], v[148:149], s[22:23]
	v_accvgpr_read_b32 v128, a98
	v_add_f64 v[150:151], v[160:161], v[150:151]
	v_accvgpr_read_b32 v161, a89
	v_add_f64 v[126:127], v[126:127], -v[128:129]
	v_mul_f64 v[128:129], v[148:149], s[10:11]
	v_mul_f64 v[132:133], v[148:149], s[18:19]
	;; [unrolled: 1-line block ×3, first 2 shown]
	v_accvgpr_read_b32 v160, a88
	v_add_f64 v[148:149], v[160:161], v[148:149]
	v_accvgpr_read_b32 v161, a85
	v_mul_f64 v[144:145], v[164:165], s[20:21]
	v_accvgpr_read_b32 v160, a84
	v_add_f64 v[144:145], v[160:161], v[144:145]
	v_accvgpr_read_b32 v161, a81
	v_mul_f64 v[22:23], v[140:141], s[6:7]
	v_mul_f64 v[10:11], v[140:141], s[14:15]
	v_mul_f64 v[140:141], v[156:157], s[22:23]
	v_accvgpr_read_b32 v160, a80
	v_add_f64 v[140:141], v[160:161], v[140:141]
	v_accvgpr_read_b32 v161, a77
	v_accvgpr_read_b32 v160, a76
	v_add_f64 v[134:135], v[160:161], v[134:135]
	v_accvgpr_read_b32 v161, a73
	v_mul_f64 v[6:7], v[142:143], s[14:15]
	v_accvgpr_read_b32 v160, a72
	v_add_f64 v[6:7], v[160:161], v[6:7]
	v_accvgpr_read_b32 v161, a71
	v_accvgpr_read_b32 v160, a70
	v_add_f64 v[18:19], v[160:161], v[18:19]
	v_add_f64 v[18:19], v[30:31], v[18:19]
	;; [unrolled: 1-line block ×5, first 2 shown]
	v_accvgpr_read_b32 v141, a75
	v_mul_f64 v[8:9], v[142:143], s[6:7]
	v_mul_f64 v[142:143], v[162:163], s[20:21]
	v_accvgpr_read_b32 v140, a74
	v_accvgpr_read_b32 v137, a95
	v_add_f64 v[140:141], v[142:143], -v[140:141]
	v_accvgpr_read_b32 v143, a69
	v_accvgpr_read_b32 v136, a94
	v_mul_f64 v[138:139], v[154:155], s[22:23]
	v_accvgpr_read_b32 v142, a68
	v_add_f64 v[20:21], v[20:21], -v[136:137]
	v_add_f64 v[138:139], v[138:139], -v[142:143]
	v_accvgpr_read_b32 v143, a67
	v_add_f64 v[20:21], v[28:29], v[20:21]
	v_accvgpr_read_b32 v142, a66
	v_add_f64 v[20:21], v[24:25], v[20:21]
	v_add_f64 v[132:133], v[132:133], -v[142:143]
	v_accvgpr_read_b32 v143, a65
	v_add_f64 v[20:21], v[126:127], v[20:21]
	v_accvgpr_read_b32 v142, a64
	v_add_f64 v[20:21], v[124:125], v[20:21]
	;; [unrolled: 5-line block ×3, first 2 shown]
	v_add_f64 v[12:13], v[12:13], -v[142:143]
	v_add_f64 v[20:21], v[26:27], v[20:21]
	v_accvgpr_read_b32 v135, a83
	v_add_f64 v[12:13], v[28:29], v[12:13]
	v_add_f64 v[2:3], v[0:1], v[2:3]
	;; [unrolled: 1-line block ×3, first 2 shown]
	v_mul_f64 v[4:5], v[182:183], s[10:11]
	v_accvgpr_read_b32 v134, a82
	v_add_f64 v[10:11], v[10:11], v[12:13]
	v_add_f64 v[4:5], v[4:5], -v[134:135]
	v_accvgpr_read_b32 v135, a79
	v_add_f64 v[10:11], v[132:133], v[10:11]
	v_mul_f64 v[146:147], v[168:169], s[16:17]
	v_accvgpr_read_b32 v134, a78
	v_add_f64 v[10:11], v[138:139], v[10:11]
	v_accvgpr_read_b32 v12, a56
	v_mul_f64 v[20:21], v[184:185], s[20:21]
	v_accvgpr_read_b32 v18, a86
	v_add_f64 v[134:135], v[146:147], -v[134:135]
	v_add_f64 v[10:11], v[140:141], v[10:11]
	v_accvgpr_read_b32 v13, a57
	v_mul_f64 v[158:159], v[196:197], s[0:1]
	v_accvgpr_read_b32 v19, a87
	v_add_f64 v[10:11], v[134:135], v[10:11]
	v_add_f64 v[12:13], v[12:13], v[20:21]
	v_accvgpr_read_b32 v20, a48
	v_mul_f64 v[124:125], v[164:165], s[16:17]
	v_add_f64 v[18:19], v[158:159], -v[18:19]
	v_add_f64 v[4:5], v[4:5], v[10:11]
	v_accvgpr_read_b32 v21, a49
	v_add_f64 v[4:5], v[18:19], v[4:5]
	v_accvgpr_read_b32 v18, a52
	;; [unrolled: 2-line block ×3, first 2 shown]
	v_mul_f64 v[120:121], v[170:171], s[18:19]
	v_accvgpr_read_b32 v19, a53
	v_accvgpr_read_b32 v124, a36
	v_add_f64 v[18:19], v[18:19], v[120:121]
	v_accvgpr_read_b32 v121, a45
	v_add_f64 v[8:9], v[124:125], v[8:9]
	v_accvgpr_read_b32 v124, a156
	v_mul_f64 v[24:25], v[156:157], s[14:15]
	v_accvgpr_read_b32 v120, a44
	v_accvgpr_read_b32 v125, a157
	v_add_f64 v[24:25], v[120:121], v[24:25]
	v_accvgpr_read_b32 v121, a41
	v_add_f64 v[14:15], v[124:125], v[14:15]
	;; [unrolled: 2-line block ×3, first 2 shown]
	v_add_f64 v[120:121], v[120:121], v[130:131]
	v_add_f64 v[8:9], v[8:9], v[14:15]
	;; [unrolled: 1-line block ×7, first 2 shown]
	v_accvgpr_read_b32 v12, a54
	v_mul_f64 v[26:27], v[182:183], s[20:21]
	v_accvgpr_read_b32 v13, a55
	v_add_f64 v[12:13], v[26:27], -v[12:13]
	v_accvgpr_read_b32 v26, a34
	v_accvgpr_read_b32 v27, a35
	v_add_f64 v[22:23], v[22:23], -v[26:27]
	v_accvgpr_read_b32 v26, a154
	v_accvgpr_read_b32 v27, a155
	;; [unrolled: 1-line block ×3, first 2 shown]
	v_add_f64 v[16:17], v[16:17], -v[26:27]
	v_accvgpr_read_b32 v20, a42
	v_accvgpr_read_b32 v25, a39
	v_add_f64 v[16:17], v[28:29], v[16:17]
	v_mul_f64 v[136:137], v[154:155], s[14:15]
	v_accvgpr_read_b32 v10, a60
	v_accvgpr_read_b32 v18, a46
	v_accvgpr_read_b32 v21, a43
	v_add_f64 v[24:25], v[128:129], -v[24:25]
	v_add_f64 v[16:17], v[22:23], v[16:17]
	v_mul_f64 v[126:127], v[162:163], s[16:17]
	v_mul_f64 v[156:157], v[204:205], s[22:23]
	v_accvgpr_read_b32 v11, a61
	v_accvgpr_read_b32 v14, a50
	;; [unrolled: 1-line block ×3, first 2 shown]
	v_add_f64 v[20:21], v[136:137], -v[20:21]
	v_add_f64 v[16:17], v[24:25], v[16:17]
	v_mul_f64 v[122:123], v[168:169], s[18:19]
	v_accvgpr_read_b32 v155, a93
	v_add_f64 v[10:11], v[10:11], v[156:157]
	v_accvgpr_read_b32 v15, a51
	v_add_f64 v[18:19], v[126:127], -v[18:19]
	v_add_f64 v[16:17], v[20:21], v[16:17]
	v_mul_f64 v[152:153], v[204:205], s[0:1]
	v_accvgpr_read_b32 v154, a92
	v_add_f64 v[10:11], v[10:11], v[8:9]
	v_accvgpr_read_b32 v8, a58
	v_add_f64 v[14:15], v[122:123], -v[14:15]
	v_add_f64 v[16:17], v[18:19], v[16:17]
	v_add_f64 v[152:153], v[154:155], v[152:153]
	v_mul_f64 v[154:155], v[196:197], s[22:23]
	v_accvgpr_read_b32 v9, a59
	v_add_f64 v[14:15], v[14:15], v[16:17]
	v_add_f64 v[8:9], v[154:155], -v[8:9]
	v_add_f64 v[12:13], v[12:13], v[14:15]
	v_add_f64 v[8:9], v[8:9], v[12:13]
	;; [unrolled: 1-line block ×36, first 2 shown]
	v_accvgpr_read_b32 v152, a32
	v_add_f64 v[12:13], v[12:13], v[88:89]
	v_accvgpr_read_b32 v16, a3
	v_accvgpr_read_b32 v161, a11
	v_add_f64 v[12:13], v[12:13], v[92:93]
	v_add_lshl_u32 v16, v152, v16, 4
	v_add_f64 v[96:97], v[206:207], v[96:97]
	v_accvgpr_read_b32 v145, a1
	v_accvgpr_read_b32 v160, a10
	;; [unrolled: 1-line block ×4, first 2 shown]
	ds_write_b128 v16, v[12:15]
	ds_write_b128 v16, v[8:11] offset:16
	ds_write_b128 v16, v[4:7] offset:32
	;; [unrolled: 1-line block ×15, first 2 shown]
	v_accvgpr_mov_b32 a11, a7
	v_accvgpr_read_b32 v144, a0
	v_mov_b32_e32 v147, v179
	v_accvgpr_read_b32 v146, a2
	v_accvgpr_mov_b32 a10, a6
	v_accvgpr_mov_b32 a9, a5
	;; [unrolled: 1-line block ×3, first 2 shown]
	ds_write_b128 v16, a[4:7] offset:256
.LBB0_7:
	s_or_b64 exec, exec, s[28:29]
	s_movk_i32 s0, 0xffef
	s_mov_b32 s1, -1
	v_lshl_add_u64 v[0:1], v[144:145], 0, s[0:1]
	v_cmp_gt_u16_e64 s[0:1], 17, v144
	s_load_dwordx4 s[4:7], s[4:5], 0x0
	s_waitcnt lgkmcnt(0)
	v_cndmask_b32_e64 v3, v1, 0, s[0:1]
	v_cndmask_b32_e64 v2, v0, v144, s[0:1]
	v_lshl_add_u64 v[0:1], v[2:3], 4, s[2:3]
	v_add_u16_e32 v3, 34, v144
	s_movk_i32 s0, 0xf1
	v_mul_lo_u16_sdwa v4, v3, s0 dst_sel:DWORD dst_unused:UNUSED_PAD src0_sel:BYTE_0 src1_sel:DWORD
	v_lshrrev_b16_e32 v5, 12, v4
	v_mul_lo_u16_e32 v4, 17, v5
	v_sub_u16_e32 v3, v3, v4
	v_mov_b32_e32 v4, 4
	s_barrier
	v_lshlrev_b32_sdwa v6, v4, v3 dst_sel:DWORD dst_unused:UNUSED_PAD src0_sel:DWORD src1_sel:BYTE_0
	global_load_dwordx4 v[38:41], v[0:1], off
	global_load_dwordx4 v[34:37], v6, s[2:3]
	v_add_u16_e32 v0, 0x44, v144
	v_mul_lo_u16_sdwa v1, v0, s0 dst_sel:DWORD dst_unused:UNUSED_PAD src0_sel:BYTE_0 src1_sel:DWORD
	v_lshrrev_b16_e32 v28, 12, v1
	v_mul_lo_u16_e32 v1, 17, v28
	v_sub_u16_e32 v29, v0, v1
	v_add_u16_e32 v1, 0x66, v144
	v_mul_lo_u16_sdwa v6, v1, s0 dst_sel:DWORD dst_unused:UNUSED_PAD src0_sel:BYTE_0 src1_sel:DWORD
	v_lshrrev_b16_e32 v30, 12, v6
	v_mul_lo_u16_e32 v6, 17, v30
	v_lshlrev_b32_sdwa v0, v4, v29 dst_sel:DWORD dst_unused:UNUSED_PAD src0_sel:DWORD src1_sel:BYTE_0
	v_sub_u16_e32 v31, v1, v6
	v_lshlrev_b32_sdwa v1, v4, v31 dst_sel:DWORD dst_unused:UNUSED_PAD src0_sel:DWORD src1_sel:BYTE_0
	global_load_dwordx4 v[132:135], v0, s[2:3]
	global_load_dwordx4 v[42:45], v1, s[2:3]
	v_add_u16_e32 v0, 0x88, v144
	v_mul_lo_u16_sdwa v1, v0, s0 dst_sel:DWORD dst_unused:UNUSED_PAD src0_sel:BYTE_0 src1_sel:DWORD
	v_lshrrev_b16_e32 v32, 12, v1
	v_mul_lo_u16_e32 v1, 17, v32
	v_sub_u16_e32 v33, v0, v1
	v_lshlrev_b32_sdwa v0, v4, v33 dst_sel:DWORD dst_unused:UNUSED_PAD src0_sel:DWORD src1_sel:BYTE_0
	global_load_dwordx4 v[136:139], v0, s[2:3]
	v_add_lshl_u32 v4, v152, v144, 4
	ds_read_b128 v[6:9], v4 offset:2720
	ds_read_b128 v[10:13], v4
	ds_read_b128 v[14:17], v4 offset:544
	ds_read_b128 v[18:21], v4 offset:3264
	ds_read_b128 v[22:25], v4 offset:3808
	ds_read_b128 v[48:51], v4 offset:1088
	ds_read_b128 v[52:55], v4 offset:1632
	ds_read_b128 v[56:59], v4 offset:2176
	ds_read_b128 v[60:63], v4 offset:4352
	ds_read_b128 v[64:67], v4 offset:4896
	v_cmp_lt_u16_e64 s[0:1], 16, v144
	v_mov_b64_e32 v[0:1], s[2:3]
	s_waitcnt lgkmcnt(0)
	s_barrier
	s_mov_b32 s14, 0x134454ff
	s_mov_b32 s15, 0x3fee6f0e
	;; [unrolled: 1-line block ×10, first 2 shown]
	s_waitcnt vmcnt(4)
	v_mul_f64 v[26:27], v[8:9], v[40:41]
	v_mul_f64 v[68:69], v[6:7], v[40:41]
	v_fma_f64 v[6:7], v[6:7], v[38:39], -v[26:27]
	s_waitcnt vmcnt(3)
	v_mul_f64 v[26:27], v[20:21], v[36:37]
	v_mul_f64 v[70:71], v[18:19], v[36:37]
	v_fma_f64 v[18:19], v[18:19], v[34:35], -v[26:27]
	v_fmac_f64_e32 v[68:69], v[8:9], v[38:39]
	v_fmac_f64_e32 v[70:71], v[20:21], v[34:35]
	v_add_f64 v[6:7], v[10:11], -v[6:7]
	v_add_f64 v[8:9], v[12:13], -v[68:69]
	;; [unrolled: 1-line block ×4, first 2 shown]
	v_fma_f64 v[10:11], v[10:11], 2.0, -v[6:7]
	s_waitcnt vmcnt(2)
	v_mul_f64 v[72:73], v[24:25], v[134:135]
	s_waitcnt vmcnt(1)
	v_mul_f64 v[76:77], v[62:63], v[44:45]
	v_fma_f64 v[26:27], v[60:61], v[42:43], -v[76:77]
	v_mul_f64 v[78:79], v[60:61], v[44:45]
	v_add_f64 v[60:61], v[52:53], -v[26:27]
	v_cndmask_b32_e64 v26, 0, 34, s[0:1]
	v_add_u32_e32 v2, v2, v26
	v_add_lshl_u32 v46, v152, v2, 4
	v_mad_legacy_u16 v2, v5, 34, v3
	v_and_b32_e32 v2, 0xff, v2
	v_add_lshl_u32 v47, v152, v2, 4
	v_mul_u32_u24_e32 v2, 34, v28
	v_add_u32_sdwa v2, v2, v29 dst_sel:DWORD dst_unused:UNUSED_PAD src0_sel:DWORD src1_sel:BYTE_0
	v_mul_f64 v[74:75], v[22:23], v[134:135]
	v_add_lshl_u32 v140, v152, v2, 4
	v_mul_u32_u24_e32 v2, 34, v30
	s_waitcnt vmcnt(0)
	v_mul_f64 v[80:81], v[66:67], v[138:139]
	v_mul_f64 v[82:83], v[64:65], v[138:139]
	v_fma_f64 v[22:23], v[22:23], v[132:133], -v[72:73]
	v_fmac_f64_e32 v[74:75], v[24:25], v[132:133]
	v_add_u32_sdwa v2, v2, v31 dst_sel:DWORD dst_unused:UNUSED_PAD src0_sel:DWORD src1_sel:BYTE_0
	v_fmac_f64_e32 v[78:79], v[62:63], v[42:43]
	v_fma_f64 v[64:65], v[64:65], v[136:137], -v[80:81]
	v_fmac_f64_e32 v[82:83], v[66:67], v[136:137]
	v_add_f64 v[22:23], v[48:49], -v[22:23]
	v_add_f64 v[24:25], v[50:51], -v[74:75]
	v_add_lshl_u32 v5, v152, v2, 4
	v_mul_u32_u24_e32 v2, 34, v32
	v_fma_f64 v[12:13], v[12:13], 2.0, -v[8:9]
	v_add_f64 v[62:63], v[54:55], -v[78:79]
	v_fma_f64 v[14:15], v[14:15], 2.0, -v[18:19]
	v_fma_f64 v[16:17], v[16:17], 2.0, -v[20:21]
	;; [unrolled: 1-line block ×4, first 2 shown]
	v_add_f64 v[64:65], v[56:57], -v[64:65]
	v_add_f64 v[66:67], v[58:59], -v[82:83]
	v_add_u32_sdwa v2, v2, v33 dst_sel:DWORD dst_unused:UNUSED_PAD src0_sel:DWORD src1_sel:BYTE_0
	s_movk_i32 s0, 0x90
	v_fma_f64 v[52:53], v[52:53], 2.0, -v[60:61]
	v_fma_f64 v[54:55], v[54:55], 2.0, -v[62:63]
	;; [unrolled: 1-line block ×4, first 2 shown]
	ds_write_b128 v46, v[10:13]
	ds_write_b128 v46, v[6:9] offset:272
	ds_write_b128 v47, v[14:17]
	ds_write_b128 v47, v[18:21] offset:272
	;; [unrolled: 2-line block ×3, first 2 shown]
	v_add_lshl_u32 v48, v152, v2, 4
	v_mad_u64_u32 v[0:1], s[0:1], v144, s0, v[0:1]
	ds_write_b128 v5, v[52:55]
	ds_write_b128 v5, v[60:63] offset:272
	ds_write_b128 v48, v[56:59]
	ds_write_b128 v48, v[64:67] offset:272
	s_waitcnt lgkmcnt(0)
	s_barrier
	global_load_dwordx4 v[60:63], v[0:1], off offset:272
	global_load_dwordx4 v[148:151], v[0:1], off offset:288
	;; [unrolled: 1-line block ×9, first 2 shown]
	ds_read_b128 v[116:119], v4
	ds_read_b128 v[8:11], v4 offset:544
	ds_read_b128 v[12:15], v4 offset:1088
	;; [unrolled: 1-line block ×9, first 2 shown]
	s_mov_b32 s0, 0x372fe950
	s_mov_b32 s1, 0x3fd3c6ef
	s_waitcnt vmcnt(8) lgkmcnt(8)
	v_mul_f64 v[0:1], v[8:9], v[62:63]
	s_waitcnt vmcnt(7) lgkmcnt(7)
	v_mul_f64 v[102:103], v[14:15], v[150:151]
	v_mul_f64 v[104:105], v[12:13], v[150:151]
	s_waitcnt vmcnt(5) lgkmcnt(5)
	v_mul_f64 v[110:111], v[22:23], v[52:53]
	v_mul_f64 v[100:101], v[10:11], v[62:63]
	;; [unrolled: 1-line block ×3, first 2 shown]
	v_fmac_f64_e32 v[0:1], v[10:11], v[60:61]
	v_fma_f64 v[10:11], v[12:13], v[148:149], -v[102:103]
	v_fmac_f64_e32 v[104:105], v[14:15], v[148:149]
	v_fma_f64 v[14:15], v[20:21], v[50:51], -v[110:111]
	s_waitcnt vmcnt(2) lgkmcnt(2)
	v_mul_f64 v[20:21], v[90:91], v[70:71]
	v_mul_f64 v[106:107], v[18:19], v[56:57]
	;; [unrolled: 1-line block ×5, first 2 shown]
	v_fmac_f64_e32 v[112:113], v[22:23], v[50:51]
	v_fma_f64 v[20:21], v[88:89], v[68:69], -v[20:21]
	v_mul_f64 v[22:23], v[88:89], v[70:71]
	v_add_f64 v[88:89], v[116:117], v[10:11]
	v_mul_f64 v[120:121], v[24:25], v[78:79]
	v_fma_f64 v[12:13], v[16:17], v[54:55], -v[106:107]
	v_fmac_f64_e32 v[108:109], v[18:19], v[54:55]
	v_fma_f64 v[16:17], v[24:25], v[76:77], -v[114:115]
	v_fma_f64 v[18:19], v[84:85], v[72:73], -v[122:123]
	s_waitcnt vmcnt(1) lgkmcnt(1)
	v_mul_f64 v[24:25], v[94:95], v[66:67]
	v_add_f64 v[88:89], v[88:89], v[14:15]
	v_fmac_f64_e32 v[120:121], v[26:27], v[76:77]
	v_fma_f64 v[24:25], v[92:93], v[64:65], -v[24:25]
	v_mul_f64 v[26:27], v[92:93], v[66:67]
	v_add_f64 v[88:89], v[88:89], v[18:19]
	v_mul_f64 v[124:125], v[84:85], v[74:75]
	v_fmac_f64_e32 v[26:27], v[94:95], v[64:65]
	v_add_f64 v[106:107], v[88:89], v[24:25]
	v_add_f64 v[88:89], v[14:15], v[18:19]
	v_fmac_f64_e32 v[124:125], v[86:87], v[72:73]
	v_fma_f64 v[110:111], -0.5, v[88:89], v[116:117]
	v_add_f64 v[88:89], v[104:105], -v[26:27]
	v_fmac_f64_e32 v[22:23], v[90:91], v[68:69]
	v_fma_f64 v[114:115], s[14:15], v[88:89], v[110:111]
	v_add_f64 v[90:91], v[112:113], -v[124:125]
	v_add_f64 v[92:93], v[10:11], -v[14:15]
	v_add_f64 v[94:95], v[24:25], -v[18:19]
	v_fmac_f64_e32 v[110:111], s[2:3], v[88:89]
	v_fmac_f64_e32 v[114:115], s[16:17], v[90:91]
	v_add_f64 v[92:93], v[92:93], v[94:95]
	v_fmac_f64_e32 v[110:111], s[10:11], v[90:91]
	v_fmac_f64_e32 v[114:115], s[0:1], v[92:93]
	;; [unrolled: 1-line block ×3, first 2 shown]
	v_add_f64 v[92:93], v[10:11], v[24:25]
	v_fmac_f64_e32 v[116:117], -0.5, v[92:93]
	v_fma_f64 v[122:123], s[2:3], v[90:91], v[116:117]
	v_fmac_f64_e32 v[116:117], s[14:15], v[90:91]
	v_fmac_f64_e32 v[122:123], s[16:17], v[88:89]
	;; [unrolled: 1-line block ×3, first 2 shown]
	v_add_f64 v[88:89], v[118:119], v[104:105]
	v_add_f64 v[88:89], v[88:89], v[112:113]
	;; [unrolled: 1-line block ×5, first 2 shown]
	v_add_f64 v[92:93], v[14:15], -v[10:11]
	v_fma_f64 v[128:129], -0.5, v[88:89], v[118:119]
	v_add_f64 v[10:11], v[10:11], -v[24:25]
	v_add_f64 v[94:95], v[18:19], -v[24:25]
	v_fma_f64 v[24:25], s[2:3], v[10:11], v[128:129]
	v_add_f64 v[14:15], v[14:15], -v[18:19]
	v_add_f64 v[18:19], v[104:105], -v[112:113]
	;; [unrolled: 1-line block ×3, first 2 shown]
	v_fmac_f64_e32 v[128:129], s[14:15], v[10:11]
	v_fmac_f64_e32 v[24:25], s[10:11], v[14:15]
	v_add_f64 v[18:19], v[18:19], v[88:89]
	v_fmac_f64_e32 v[128:129], s[16:17], v[14:15]
	v_fmac_f64_e32 v[24:25], s[0:1], v[18:19]
	;; [unrolled: 1-line block ×3, first 2 shown]
	v_add_f64 v[18:19], v[104:105], v[26:27]
	v_fmac_f64_e32 v[118:119], -0.5, v[18:19]
	s_waitcnt vmcnt(0) lgkmcnt(0)
	v_mul_f64 v[86:87], v[96:97], v[82:83]
	v_fma_f64 v[18:19], s[14:15], v[14:15], v[118:119]
	v_add_f64 v[88:89], v[112:113], -v[104:105]
	v_add_f64 v[26:27], v[124:125], -v[26:27]
	v_fmac_f64_e32 v[118:119], s[2:3], v[14:15]
	v_fma_f64 v[8:9], v[8:9], v[60:61], -v[100:101]
	v_mul_f64 v[84:85], v[98:99], v[82:83]
	v_fmac_f64_e32 v[86:87], v[98:99], v[80:81]
	v_fmac_f64_e32 v[18:19], s[10:11], v[10:11]
	v_add_f64 v[26:27], v[88:89], v[26:27]
	v_fmac_f64_e32 v[118:119], s[16:17], v[10:11]
	v_add_f64 v[14:15], v[16:17], v[20:21]
	v_fma_f64 v[84:85], v[96:97], v[80:81], -v[84:85]
	v_add_f64 v[92:93], v[92:93], v[94:95]
	v_fmac_f64_e32 v[18:19], s[0:1], v[26:27]
	v_fmac_f64_e32 v[118:119], s[0:1], v[26:27]
	v_fma_f64 v[14:15], -0.5, v[14:15], v[8:9]
	v_add_f64 v[26:27], v[108:109], -v[86:87]
	v_fmac_f64_e32 v[122:123], s[0:1], v[92:93]
	v_fmac_f64_e32 v[116:117], s[0:1], v[92:93]
	v_fma_f64 v[90:91], s[14:15], v[26:27], v[14:15]
	v_add_f64 v[88:89], v[120:121], -v[22:23]
	v_add_f64 v[92:93], v[12:13], -v[16:17]
	;; [unrolled: 1-line block ×3, first 2 shown]
	v_fmac_f64_e32 v[14:15], s[2:3], v[26:27]
	v_fmac_f64_e32 v[90:91], s[16:17], v[88:89]
	v_add_f64 v[92:93], v[92:93], v[94:95]
	v_fmac_f64_e32 v[14:15], s[10:11], v[88:89]
	v_fmac_f64_e32 v[90:91], s[0:1], v[92:93]
	;; [unrolled: 1-line block ×3, first 2 shown]
	v_add_f64 v[92:93], v[12:13], v[84:85]
	v_add_f64 v[10:11], v[8:9], v[12:13]
	v_fmac_f64_e32 v[8:9], -0.5, v[92:93]
	v_add_f64 v[10:11], v[10:11], v[16:17]
	v_fma_f64 v[94:95], s[2:3], v[88:89], v[8:9]
	v_fmac_f64_e32 v[8:9], s[14:15], v[88:89]
	v_add_f64 v[88:89], v[120:121], v[22:23]
	v_add_f64 v[10:11], v[10:11], v[20:21]
	v_add_f64 v[92:93], v[16:17], -v[12:13]
	v_fma_f64 v[102:103], -0.5, v[88:89], v[0:1]
	v_add_f64 v[12:13], v[12:13], -v[84:85]
	v_add_f64 v[10:11], v[10:11], v[84:85]
	v_add_f64 v[96:97], v[20:21], -v[84:85]
	v_fma_f64 v[98:99], s[2:3], v[12:13], v[102:103]
	v_add_f64 v[16:17], v[16:17], -v[20:21]
	v_add_f64 v[20:21], v[108:109], -v[120:121]
	v_add_f64 v[84:85], v[86:87], -v[22:23]
	v_fmac_f64_e32 v[102:103], s[14:15], v[12:13]
	v_fmac_f64_e32 v[98:99], s[10:11], v[16:17]
	v_add_f64 v[20:21], v[20:21], v[84:85]
	v_fmac_f64_e32 v[102:103], s[16:17], v[16:17]
	v_fmac_f64_e32 v[94:95], s[16:17], v[26:27]
	;; [unrolled: 1-line block ×3, first 2 shown]
	v_add_f64 v[26:27], v[0:1], v[108:109]
	v_fmac_f64_e32 v[98:99], s[0:1], v[20:21]
	v_fmac_f64_e32 v[102:103], s[0:1], v[20:21]
	v_add_f64 v[20:21], v[108:109], v[86:87]
	v_add_f64 v[26:27], v[26:27], v[120:121]
	v_fmac_f64_e32 v[0:1], -0.5, v[20:21]
	v_add_f64 v[92:93], v[92:93], v[96:97]
	v_add_f64 v[26:27], v[26:27], v[22:23]
	v_fma_f64 v[20:21], s[14:15], v[16:17], v[0:1]
	v_add_f64 v[84:85], v[120:121], -v[108:109]
	v_add_f64 v[22:23], v[22:23], -v[86:87]
	v_fmac_f64_e32 v[0:1], s[2:3], v[16:17]
	v_fmac_f64_e32 v[8:9], s[0:1], v[92:93]
	;; [unrolled: 1-line block ×3, first 2 shown]
	v_add_f64 v[22:23], v[84:85], v[22:23]
	v_fmac_f64_e32 v[0:1], s[16:17], v[12:13]
	v_fmac_f64_e32 v[20:21], s[0:1], v[22:23]
	;; [unrolled: 1-line block ×3, first 2 shown]
	v_mul_f64 v[22:23], v[8:9], s[0:1]
	v_fmac_f64_e32 v[94:95], s[0:1], v[92:93]
	v_fma_f64 v[22:23], v[0:1], s[14:15], -v[22:23]
	v_mul_f64 v[0:1], v[0:1], s[0:1]
	v_add_f64 v[26:27], v[26:27], v[86:87]
	v_mul_f64 v[12:13], v[98:99], s[16:17]
	v_mul_f64 v[16:17], v[20:21], s[14:15]
	;; [unrolled: 1-line block ×5, first 2 shown]
	v_fma_f64 v[0:1], v[8:9], s[2:3], -v[0:1]
	v_mul_f64 v[8:9], v[102:103], s[18:19]
	v_fmac_f64_e32 v[12:13], s[18:19], v[90:91]
	v_fmac_f64_e32 v[16:17], s[0:1], v[94:95]
	v_fma_f64 v[120:121], v[102:103], s[16:17], -v[86:87]
	v_fmac_f64_e32 v[124:125], s[18:19], v[98:99]
	v_fmac_f64_e32 v[130:131], s[0:1], v[20:21]
	v_fma_f64 v[8:9], v[14:15], s[10:11], -v[8:9]
	v_add_f64 v[84:85], v[106:107], v[10:11]
	v_add_f64 v[88:89], v[114:115], v[12:13]
	;; [unrolled: 1-line block ×10, first 2 shown]
	v_add_f64 v[104:105], v[106:107], -v[10:11]
	v_add_f64 v[108:109], v[114:115], -v[12:13]
	;; [unrolled: 1-line block ×10, first 2 shown]
	v_lshl_add_u32 v9, v144, 4, v147
	v_lshl_add_u32 v8, v144, 4, v147
	ds_write_b128 v9, v[84:87]
	ds_write_b128 v8, v[88:91] offset:544
	ds_write_b128 v8, v[92:95] offset:1088
	;; [unrolled: 1-line block ×9, first 2 shown]
	s_waitcnt lgkmcnt(0)
	s_barrier
	s_and_saveexec_b64 s[2:3], vcc
	s_cbranch_execz .LBB0_9
; %bb.8:
	s_add_u32 s10, s8, 0x1540
	s_addc_u32 s11, s9, 0
	global_load_dwordx4 v[14:17], v178, s[10:11]
	ds_read_b128 v[10:13], v9
	v_mov_b32_e32 v179, 0
	v_lshl_add_u64 v[124:125], s[10:11], 0, v[178:179]
	s_movk_i32 s0, 0x1000
	s_waitcnt vmcnt(0) lgkmcnt(0)
	v_mul_f64 v[0:1], v[12:13], v[16:17]
	v_mul_f64 v[20:21], v[10:11], v[16:17]
	v_fma_f64 v[18:19], v[10:11], v[14:15], -v[0:1]
	v_fmac_f64_e32 v[20:21], v[12:13], v[14:15]
	global_load_dwordx4 v[14:17], v178, s[10:11] offset:320
	ds_write_b128 v9, v[18:21]
	ds_read_b128 v[10:13], v8 offset:320
	s_waitcnt vmcnt(0) lgkmcnt(0)
	v_mul_f64 v[0:1], v[12:13], v[16:17]
	v_mul_f64 v[20:21], v[10:11], v[16:17]
	v_fma_f64 v[18:19], v[10:11], v[14:15], -v[0:1]
	v_fmac_f64_e32 v[20:21], v[12:13], v[14:15]
	global_load_dwordx4 v[14:17], v178, s[10:11] offset:640
	ds_read_b128 v[10:13], v8 offset:640
	ds_write_b128 v8, v[18:21] offset:320
	s_waitcnt vmcnt(0) lgkmcnt(1)
	v_mul_f64 v[0:1], v[12:13], v[16:17]
	v_mul_f64 v[20:21], v[10:11], v[16:17]
	v_fma_f64 v[18:19], v[10:11], v[14:15], -v[0:1]
	v_fmac_f64_e32 v[20:21], v[12:13], v[14:15]
	global_load_dwordx4 v[14:17], v178, s[10:11] offset:960
	ds_read_b128 v[10:13], v8 offset:960
	ds_write_b128 v8, v[18:21] offset:640
	;; [unrolled: 8-line block ×11, first 2 shown]
	s_waitcnt vmcnt(0) lgkmcnt(1)
	v_mul_f64 v[0:1], v[12:13], v[16:17]
	v_fma_f64 v[18:19], v[10:11], v[14:15], -v[0:1]
	v_add_co_u32_e64 v0, s[0:1], s0, v124
	v_mul_f64 v[20:21], v[10:11], v[16:17]
	s_nop 0
	v_addc_co_u32_e64 v1, s[0:1], 0, v125, s[0:1]
	v_fmac_f64_e32 v[20:21], v[12:13], v[14:15]
	global_load_dwordx4 v[14:17], v[0:1], off offset:64
	ds_read_b128 v[10:13], v8 offset:4160
	ds_read_b128 v[124:127], v8 offset:5120
	ds_write_b128 v8, v[18:21] offset:3840
	s_waitcnt vmcnt(0) lgkmcnt(2)
	v_mul_f64 v[18:19], v[12:13], v[16:17]
	v_mul_f64 v[20:21], v[10:11], v[16:17]
	v_fma_f64 v[18:19], v[10:11], v[14:15], -v[18:19]
	v_fmac_f64_e32 v[20:21], v[12:13], v[14:15]
	global_load_dwordx4 v[14:17], v[0:1], off offset:384
	ds_read_b128 v[10:13], v8 offset:4480
	ds_write_b128 v8, v[18:21] offset:4160
	s_waitcnt vmcnt(0) lgkmcnt(1)
	v_mul_f64 v[18:19], v[12:13], v[16:17]
	v_mul_f64 v[20:21], v[10:11], v[16:17]
	v_fma_f64 v[18:19], v[10:11], v[14:15], -v[18:19]
	v_fmac_f64_e32 v[20:21], v[12:13], v[14:15]
	global_load_dwordx4 v[14:17], v[0:1], off offset:704
	ds_read_b128 v[10:13], v8 offset:4800
	ds_write_b128 v8, v[18:21] offset:4480
	s_waitcnt vmcnt(0) lgkmcnt(1)
	v_mul_f64 v[0:1], v[12:13], v[16:17]
	v_fma_f64 v[18:19], v[10:11], v[14:15], -v[0:1]
	v_or_b32_e32 v0, 0x1400, v178
	global_load_dwordx4 v[128:131], v0, s[10:11]
	v_mul_f64 v[20:21], v[10:11], v[16:17]
	v_fmac_f64_e32 v[20:21], v[12:13], v[14:15]
	ds_write_b128 v8, v[18:21] offset:4800
	s_waitcnt vmcnt(0)
	v_mul_f64 v[0:1], v[126:127], v[130:131]
	v_mul_f64 v[12:13], v[124:125], v[130:131]
	v_fma_f64 v[10:11], v[124:125], v[128:129], -v[0:1]
	v_fmac_f64_e32 v[12:13], v[126:127], v[128:129]
	ds_write_b128 v8, v[10:13] offset:5120
.LBB0_9:
	s_or_b64 exec, exec, s[2:3]
	s_waitcnt lgkmcnt(0)
	s_barrier
	s_and_saveexec_b64 s[0:1], vcc
	s_cbranch_execz .LBB0_11
; %bb.10:
	ds_read_b128 v[84:87], v9
	ds_read_b128 v[88:91], v9 offset:320
	ds_read_b128 v[92:95], v9 offset:640
	;; [unrolled: 1-line block ×16, first 2 shown]
.LBB0_11:
	s_or_b64 exec, exec, s[0:1]
	s_waitcnt lgkmcnt(0)
	s_barrier
	s_and_saveexec_b64 s[0:1], vcc
	s_cbranch_execz .LBB0_13
; %bb.12:
	v_accvgpr_write_b32 a32, v54
	v_accvgpr_write_b32 a33, v55
	;; [unrolled: 1-line block ×4, first 2 shown]
	v_accvgpr_read_b32 v59, a31
	v_accvgpr_read_b32 v58, a30
	;; [unrolled: 1-line block ×4, first 2 shown]
	v_accvgpr_write_b32 a28, v50
	v_accvgpr_write_b32 a29, v51
	;; [unrolled: 1-line block ×4, first 2 shown]
	v_accvgpr_read_b32 v55, a27
	v_accvgpr_read_b32 v54, a26
	v_accvgpr_read_b32 v53, a25
	v_accvgpr_read_b32 v52, a24
	v_accvgpr_write_b32 a26, v48
	v_accvgpr_read_b32 v51, a23
	v_accvgpr_read_b32 v50, a22
	;; [unrolled: 1-line block ×4, first 2 shown]
	v_accvgpr_write_b32 a20, v42
	v_accvgpr_write_b32 a21, v43
	v_accvgpr_write_b32 a22, v44
	v_accvgpr_write_b32 a23, v45
	v_accvgpr_write_b32 a1, v46
	v_accvgpr_write_b32 a24, v47
	v_accvgpr_read_b32 v47, a19
	v_accvgpr_read_b32 v46, a18
	;; [unrolled: 1-line block ×4, first 2 shown]
	v_accvgpr_write_b32 a16, v38
	v_accvgpr_write_b32 a4, v34
	;; [unrolled: 1-line block ×8, first 2 shown]
	v_accvgpr_read_b32 v39, a11
	v_accvgpr_read_b32 v37, a9
	;; [unrolled: 1-line block ×3, first 2 shown]
	s_mov_b32 s34, 0xacd6c6b4
	v_accvgpr_read_b32 v43, a15
	s_mov_b32 s38, 0x5d8e7cdc
	v_accvgpr_read_b32 v38, a10
	v_add_f64 v[228:229], v[88:89], -v[36:37]
	s_mov_b32 s35, 0xbfc7851a
	v_accvgpr_write_b32 a8, v132
	s_mov_b32 s28, 0x7faef3
	v_accvgpr_read_b32 v41, a13
	v_accvgpr_read_b32 v40, a12
	s_mov_b32 s30, 0x4363dd80
	v_add_f64 v[226:227], v[92:93], -v[158:159]
	s_mov_b32 s39, 0x3fd71e95
	s_mov_b32 s24, 0x370991
	v_accvgpr_write_b32 a9, v133
	v_accvgpr_write_b32 a10, v134
	;; [unrolled: 1-line block ×3, first 2 shown]
	v_mul_f64 v[132:133], v[228:229], s[34:35]
	v_add_f64 v[204:205], v[90:91], v[38:39]
	s_mov_b32 s29, 0xbfef7484
	s_mov_b32 s44, 0x2a9d6da3
	v_accvgpr_read_b32 v42, a14
	v_add_f64 v[218:219], v[96:97], -v[40:41]
	s_mov_b32 s31, 0xbfe0d888
	s_mov_b32 s22, 0x910ea3b9
	v_mul_f64 v[130:131], v[226:227], s[38:39]
	v_add_f64 v[200:201], v[94:95], v[160:161]
	s_mov_b32 s25, 0x3fedd6d0
	v_fma_f64 v[134:135], s[28:29], v[204:205], v[132:133]
	v_accvgpr_write_b32 a36, v148
	v_add_f64 v[244:245], v[90:91], -v[38:39]
	s_mov_b32 s26, 0x6c9a05f6
	v_add_f64 v[206:207], v[100:101], -v[44:45]
	s_mov_b32 s45, 0x3fe58eea
	s_mov_b32 s18, 0x75d4884
	v_mul_f64 v[128:129], v[218:219], s[30:31]
	v_add_f64 v[196:197], v[98:99], v[42:43]
	s_mov_b32 s23, 0xbfeb34fa
	v_fma_f64 v[126:127], s[24:25], v[200:201], v[130:131]
	v_add_f64 v[134:135], v[86:87], v[134:135]
	v_add_f64 v[242:243], v[94:95], -v[160:161]
	v_accvgpr_write_b32 a37, v149
	v_accvgpr_write_b32 a38, v150
	v_accvgpr_write_b32 a39, v151
	v_add_f64 v[224:225], v[88:89], v[36:37]
	v_mul_f64 v[150:151], v[244:245], s[34:35]
	s_mov_b32 s36, 0x7c9e640b
	v_add_f64 v[202:203], v[104:105], -v[48:49]
	s_mov_b32 s27, 0xbfe9895b
	s_mov_b32 s16, 0x6ed5f1bb
	v_mul_f64 v[24:25], v[206:207], s[44:45]
	v_add_f64 v[192:193], v[102:103], v[46:47]
	s_mov_b32 s19, 0x3fe7a5f6
	v_fma_f64 v[124:125], s[22:23], v[196:197], v[128:129]
	v_add_f64 v[126:127], v[126:127], v[134:135]
	v_add_f64 v[240:241], v[98:99], -v[42:43]
	v_add_f64 v[222:223], v[92:93], v[158:159]
	v_accvgpr_write_b32 a2, v146
	v_mov_b32_e32 v179, v147
	v_mul_f64 v[146:147], v[242:243], s[38:39]
	v_fma_f64 v[152:153], v[224:225], s[28:29], -v[150:151]
	s_mov_b32 s20, 0x923c349f
	v_add_f64 v[198:199], v[108:109], -v[52:53]
	s_mov_b32 s37, 0x3feca52d
	s_mov_b32 s14, 0x2b2883cd
	v_mul_f64 v[20:21], v[202:203], s[26:27]
	v_add_f64 v[188:189], v[106:107], v[50:51]
	s_mov_b32 s17, 0xbfe348c8
	v_fma_f64 v[26:27], s[18:19], v[192:193], v[24:25]
	v_add_f64 v[124:125], v[124:125], v[126:127]
	v_accvgpr_write_b32 a12, v136
	v_add_f64 v[238:239], v[102:103], -v[46:47]
	v_add_f64 v[220:221], v[96:97], v[40:41]
	v_mul_f64 v[142:143], v[240:241], s[30:31]
	v_fma_f64 v[148:149], v[222:223], s[24:25], -v[146:147]
	v_add_f64 v[152:153], v[84:85], v[152:153]
	s_mov_b32 s48, 0xeb564b22
	v_add_f64 v[194:195], v[112:113], -v[56:57]
	s_mov_b32 s21, 0xbfeec746
	s_mov_b32 s10, 0xc61f0d01
	v_mul_f64 v[16:17], v[198:199], s[36:37]
	v_add_f64 v[186:187], v[110:111], v[54:55]
	s_mov_b32 s15, 0x3fdc86fa
	v_fma_f64 v[22:23], s[16:17], v[188:189], v[20:21]
	v_add_f64 v[26:27], v[26:27], v[124:125]
	v_add_f64 v[236:237], v[106:107], -v[50:51]
	v_accvgpr_write_b32 a13, v137
	v_accvgpr_write_b32 a14, v138
	;; [unrolled: 1-line block ×3, first 2 shown]
	v_add_f64 v[216:217], v[100:101], v[44:45]
	v_mul_f64 v[138:139], v[238:239], s[44:45]
	v_accvgpr_write_b32 a0, v144
	v_fma_f64 v[144:145], v[220:221], s[22:23], -v[142:143]
	v_add_f64 v[148:149], v[148:149], v[152:153]
	v_add_f64 v[190:191], v[116:117], -v[120:121]
	s_mov_b32 s49, 0x3fefdd0d
	s_mov_b32 s2, 0x3259b75e
	v_mul_f64 v[12:13], v[194:195], s[20:21]
	v_add_f64 v[184:185], v[114:115], v[58:59]
	s_mov_b32 s11, 0xbfd183b1
	v_fma_f64 v[18:19], s[14:15], v[186:187], v[16:17]
	v_add_f64 v[22:23], v[22:23], v[26:27]
	v_add_f64 v[234:235], v[110:111], -v[54:55]
	v_add_f64 v[214:215], v[104:105], v[48:49]
	v_mul_f64 v[134:135], v[236:237], s[26:27]
	v_accvgpr_write_b32 a25, v140
	v_fma_f64 v[140:141], v[216:217], s[18:19], -v[138:139]
	v_add_f64 v[144:145], v[144:145], v[148:149]
	v_mul_f64 v[0:1], v[190:191], s[48:49]
	v_add_f64 v[182:183], v[118:119], v[122:123]
	s_mov_b32 s3, 0x3fb79ee6
	v_fma_f64 v[14:15], s[10:11], v[184:185], v[12:13]
	v_add_f64 v[18:19], v[18:19], v[22:23]
	v_add_f64 v[232:233], v[114:115], -v[58:59]
	v_add_f64 v[212:213], v[108:109], v[52:53]
	v_mul_f64 v[26:27], v[234:235], s[36:37]
	v_fma_f64 v[136:137], v[214:215], s[16:17], -v[134:135]
	v_add_f64 v[140:141], v[140:141], v[144:145]
	v_fma_f64 v[10:11], s[2:3], v[182:183], v[0:1]
	v_add_f64 v[14:15], v[14:15], v[18:19]
	v_add_f64 v[230:231], v[118:119], -v[122:123]
	v_add_f64 v[210:211], v[112:113], v[56:57]
	v_mul_f64 v[18:19], v[232:233], s[20:21]
	v_fma_f64 v[124:125], v[212:213], s[14:15], -v[26:27]
	v_add_f64 v[136:137], v[136:137], v[140:141]
	v_add_f64 v[30:31], v[10:11], v[14:15]
	;; [unrolled: 1-line block ×3, first 2 shown]
	v_mul_f64 v[10:11], v[230:231], s[48:49]
	v_fma_f64 v[22:23], v[210:211], s[10:11], -v[18:19]
	v_add_f64 v[124:125], v[124:125], v[136:137]
	v_fma_f64 v[14:15], v[208:209], s[2:3], -v[10:11]
	v_add_f64 v[22:23], v[22:23], v[124:125]
	v_add_f64 v[28:29], v[14:15], v[22:23]
	v_fma_f64 v[22:23], v[196:197], s[22:23], -v[128:129]
	v_fma_f64 v[128:129], v[204:205], s[28:29], -v[132:133]
	;; [unrolled: 1-line block ×6, first 2 shown]
	v_add_f64 v[128:129], v[86:87], v[128:129]
	v_add_f64 v[24:25], v[24:25], v[128:129]
	;; [unrolled: 1-line block ×5, first 2 shown]
	v_fma_f64 v[12:13], v[184:185], s[10:11], -v[12:13]
	v_add_f64 v[14:15], v[14:15], v[16:17]
	v_fma_f64 v[0:1], v[182:183], s[2:3], -v[0:1]
	v_add_f64 v[12:13], v[12:13], v[14:15]
	v_fmac_f64_e32 v[150:151], s[28:29], v[224:225]
	v_add_f64 v[130:131], v[0:1], v[12:13]
	v_fmac_f64_e32 v[146:147], s[24:25], v[222:223]
	;; [unrolled: 2-line block ×4, first 2 shown]
	v_add_f64 v[0:1], v[142:143], v[0:1]
	v_mul_f64 v[140:141], v[228:229], s[30:31]
	v_fmac_f64_e32 v[134:135], s[16:17], v[214:215]
	v_add_f64 v[0:1], v[138:139], v[0:1]
	s_mov_b32 s43, 0xbfefdd0d
	s_mov_b32 s42, s48
	v_mul_f64 v[138:139], v[226:227], s[36:37]
	v_fma_f64 v[142:143], s[22:23], v[204:205], v[140:141]
	v_mov_b64_e32 v[124:125], v[158:159]
	v_add_f64 v[0:1], v[134:135], v[0:1]
	s_mov_b32 s55, 0x3fe9895b
	s_mov_b32 s54, s26
	v_mul_f64 v[136:137], v[218:219], s[42:43]
	v_fma_f64 v[134:135], s[14:15], v[200:201], v[138:139]
	v_add_f64 v[142:143], v[86:87], v[142:143]
	v_mov_b64_e32 v[126:127], v[160:161]
	v_mul_f64 v[158:159], v[244:245], s[30:31]
	v_fmac_f64_e32 v[26:27], s[14:15], v[212:213]
	s_mov_b32 s41, 0xbfd71e95
	s_mov_b32 s40, s38
	v_mul_f64 v[24:25], v[206:207], s[54:55]
	v_fma_f64 v[132:133], s[2:3], v[196:197], v[136:137]
	v_add_f64 v[134:135], v[134:135], v[142:143]
	v_mul_f64 v[154:155], v[242:243], s[36:37]
	v_fma_f64 v[160:161], v[224:225], s[22:23], -v[158:159]
	v_add_f64 v[0:1], v[26:27], v[0:1]
	v_mul_f64 v[20:21], v[202:203], s[40:41]
	v_fma_f64 v[26:27], s[16:17], v[192:193], v[24:25]
	v_add_f64 v[132:133], v[132:133], v[134:135]
	v_mul_f64 v[150:151], v[240:241], s[42:43]
	v_fma_f64 v[156:157], v[222:223], s[14:15], -v[154:155]
	v_add_f64 v[160:161], v[84:85], v[160:161]
	v_fmac_f64_e32 v[18:19], s[10:11], v[210:211]
	v_mul_f64 v[16:17], v[198:199], s[34:35]
	v_fma_f64 v[22:23], s[24:25], v[188:189], v[20:21]
	v_add_f64 v[26:27], v[26:27], v[132:133]
	v_mul_f64 v[146:147], v[238:239], s[54:55]
	v_fma_f64 v[152:153], v[220:221], s[2:3], -v[150:151]
	v_add_f64 v[156:157], v[156:157], v[160:161]
	v_fmac_f64_e32 v[10:11], s[2:3], v[208:209]
	v_add_f64 v[0:1], v[18:19], v[0:1]
	v_mul_f64 v[12:13], v[194:195], s[44:45]
	v_fma_f64 v[18:19], s[28:29], v[186:187], v[16:17]
	v_add_f64 v[22:23], v[22:23], v[26:27]
	v_mul_f64 v[142:143], v[236:237], s[40:41]
	v_fma_f64 v[148:149], v[216:217], s[16:17], -v[146:147]
	v_add_f64 v[152:153], v[152:153], v[156:157]
	v_add_f64 v[128:129], v[10:11], v[0:1]
	v_mul_f64 v[0:1], v[190:191], s[20:21]
	v_fma_f64 v[14:15], s[18:19], v[184:185], v[12:13]
	v_add_f64 v[18:19], v[18:19], v[22:23]
	v_mul_f64 v[26:27], v[234:235], s[34:35]
	v_fma_f64 v[144:145], v[214:215], s[24:25], -v[142:143]
	v_add_f64 v[148:149], v[148:149], v[152:153]
	v_fma_f64 v[10:11], s[10:11], v[182:183], v[0:1]
	v_add_f64 v[14:15], v[14:15], v[18:19]
	v_mul_f64 v[18:19], v[232:233], s[44:45]
	v_fma_f64 v[132:133], v[212:213], s[28:29], -v[26:27]
	v_add_f64 v[144:145], v[144:145], v[148:149]
	v_add_f64 v[134:135], v[10:11], v[14:15]
	v_mul_f64 v[10:11], v[230:231], s[20:21]
	v_fma_f64 v[22:23], v[210:211], s[18:19], -v[18:19]
	v_add_f64 v[132:133], v[132:133], v[144:145]
	v_fma_f64 v[14:15], v[208:209], s[10:11], -v[10:11]
	v_add_f64 v[22:23], v[22:23], v[132:133]
	v_add_f64 v[132:133], v[14:15], v[22:23]
	v_fma_f64 v[22:23], v[196:197], s[2:3], -v[136:137]
	v_fma_f64 v[136:137], v[204:205], s[22:23], -v[140:141]
	;; [unrolled: 1-line block ×6, first 2 shown]
	v_add_f64 v[136:137], v[86:87], v[136:137]
	v_add_f64 v[24:25], v[24:25], v[136:137]
	;; [unrolled: 1-line block ×5, first 2 shown]
	v_fma_f64 v[12:13], v[184:185], s[18:19], -v[12:13]
	v_add_f64 v[14:15], v[14:15], v[16:17]
	v_fma_f64 v[0:1], v[182:183], s[10:11], -v[0:1]
	v_add_f64 v[12:13], v[12:13], v[14:15]
	v_fmac_f64_e32 v[158:159], s[22:23], v[224:225]
	v_add_f64 v[138:139], v[0:1], v[12:13]
	v_fmac_f64_e32 v[154:155], s[14:15], v[222:223]
	v_add_f64 v[0:1], v[84:85], v[158:159]
	v_fmac_f64_e32 v[150:151], s[2:3], v[220:221]
	v_add_f64 v[0:1], v[154:155], v[0:1]
	v_fmac_f64_e32 v[146:147], s[16:17], v[216:217]
	v_add_f64 v[0:1], v[150:151], v[0:1]
	s_mov_b32 s53, 0x3feec746
	s_mov_b32 s52, s20
	v_mul_f64 v[148:149], v[228:229], s[26:27]
	v_fmac_f64_e32 v[142:143], s[24:25], v[214:215]
	v_add_f64 v[0:1], v[146:147], v[0:1]
	v_mul_f64 v[146:147], v[226:227], s[52:53]
	v_fma_f64 v[150:151], s[16:17], v[204:205], v[148:149]
	v_add_f64 v[0:1], v[142:143], v[0:1]
	v_mul_f64 v[144:145], v[218:219], s[40:41]
	v_fma_f64 v[142:143], s[10:11], v[200:201], v[146:147]
	v_add_f64 v[150:151], v[86:87], v[150:151]
	v_mul_f64 v[166:167], v[244:245], s[26:27]
	v_fmac_f64_e32 v[26:27], s[28:29], v[212:213]
	v_mul_f64 v[24:25], v[206:207], s[30:31]
	v_fma_f64 v[140:141], s[24:25], v[196:197], v[144:145]
	v_add_f64 v[142:143], v[142:143], v[150:151]
	v_mul_f64 v[162:163], v[242:243], s[52:53]
	v_fma_f64 v[168:169], v[224:225], s[16:17], -v[166:167]
	v_add_f64 v[0:1], v[26:27], v[0:1]
	s_mov_b32 s47, 0xbfe58eea
	s_mov_b32 s46, s44
	v_mul_f64 v[20:21], v[202:203], s[48:49]
	v_fma_f64 v[26:27], s[22:23], v[192:193], v[24:25]
	v_add_f64 v[140:141], v[140:141], v[142:143]
	v_mul_f64 v[158:159], v[240:241], s[40:41]
	v_fma_f64 v[164:165], v[222:223], s[10:11], -v[162:163]
	v_add_f64 v[168:169], v[84:85], v[168:169]
	v_fmac_f64_e32 v[18:19], s[18:19], v[210:211]
	v_mul_f64 v[16:17], v[198:199], s[46:47]
	v_fma_f64 v[22:23], s[2:3], v[188:189], v[20:21]
	v_add_f64 v[26:27], v[26:27], v[140:141]
	v_mul_f64 v[154:155], v[238:239], s[30:31]
	v_fma_f64 v[160:161], v[220:221], s[24:25], -v[158:159]
	v_add_f64 v[164:165], v[164:165], v[168:169]
	v_fmac_f64_e32 v[10:11], s[10:11], v[208:209]
	v_add_f64 v[0:1], v[18:19], v[0:1]
	v_mul_f64 v[12:13], v[194:195], s[34:35]
	v_fma_f64 v[18:19], s[18:19], v[186:187], v[16:17]
	v_add_f64 v[22:23], v[22:23], v[26:27]
	v_mul_f64 v[150:151], v[236:237], s[48:49]
	v_fma_f64 v[156:157], v[216:217], s[22:23], -v[154:155]
	v_add_f64 v[160:161], v[160:161], v[164:165]
	v_add_f64 v[136:137], v[10:11], v[0:1]
	v_mul_f64 v[0:1], v[190:191], s[36:37]
	v_fma_f64 v[14:15], s[28:29], v[184:185], v[12:13]
	v_add_f64 v[18:19], v[18:19], v[22:23]
	v_mul_f64 v[26:27], v[234:235], s[46:47]
	v_fma_f64 v[152:153], v[214:215], s[2:3], -v[150:151]
	v_add_f64 v[156:157], v[156:157], v[160:161]
	v_fma_f64 v[10:11], s[14:15], v[182:183], v[0:1]
	v_add_f64 v[14:15], v[14:15], v[18:19]
	v_mul_f64 v[18:19], v[232:233], s[34:35]
	v_fma_f64 v[140:141], v[212:213], s[18:19], -v[26:27]
	v_add_f64 v[152:153], v[152:153], v[156:157]
	v_add_f64 v[142:143], v[10:11], v[14:15]
	v_mul_f64 v[10:11], v[230:231], s[36:37]
	v_fma_f64 v[22:23], v[210:211], s[28:29], -v[18:19]
	v_add_f64 v[140:141], v[140:141], v[152:153]
	v_fma_f64 v[14:15], v[208:209], s[14:15], -v[10:11]
	v_add_f64 v[22:23], v[22:23], v[140:141]
	v_add_f64 v[140:141], v[14:15], v[22:23]
	v_fma_f64 v[22:23], v[196:197], s[24:25], -v[144:145]
	v_fma_f64 v[144:145], v[204:205], s[16:17], -v[148:149]
	;; [unrolled: 1-line block ×6, first 2 shown]
	v_add_f64 v[144:145], v[86:87], v[144:145]
	v_add_f64 v[24:25], v[24:25], v[144:145]
	v_add_f64 v[22:23], v[22:23], v[24:25]
	v_add_f64 v[20:21], v[20:21], v[22:23]
	v_add_f64 v[16:17], v[16:17], v[20:21]
	v_fma_f64 v[12:13], v[184:185], s[28:29], -v[12:13]
	v_add_f64 v[14:15], v[14:15], v[16:17]
	v_fma_f64 v[0:1], v[182:183], s[14:15], -v[0:1]
	v_add_f64 v[12:13], v[12:13], v[14:15]
	v_fmac_f64_e32 v[166:167], s[16:17], v[224:225]
	v_add_f64 v[146:147], v[0:1], v[12:13]
	v_fmac_f64_e32 v[162:163], s[10:11], v[222:223]
	v_add_f64 v[0:1], v[84:85], v[166:167]
	v_fmac_f64_e32 v[158:159], s[24:25], v[220:221]
	v_add_f64 v[0:1], v[162:163], v[0:1]
	v_fmac_f64_e32 v[154:155], s[22:23], v[216:217]
	v_add_f64 v[0:1], v[158:159], v[0:1]
	s_mov_b32 s57, 0x3fe0d888
	s_mov_b32 s56, s30
	v_mul_f64 v[156:157], v[228:229], s[20:21]
	v_fmac_f64_e32 v[150:151], s[2:3], v[214:215]
	v_add_f64 v[0:1], v[154:155], v[0:1]
	v_mul_f64 v[154:155], v[226:227], s[56:57]
	v_fma_f64 v[158:159], s[10:11], v[204:205], v[156:157]
	v_add_f64 v[0:1], v[150:151], v[0:1]
	s_mov_b32 s51, 0xbfeca52d
	s_mov_b32 s50, s36
	v_mul_f64 v[152:153], v[218:219], s[44:45]
	v_fma_f64 v[150:151], s[22:23], v[200:201], v[154:155]
	v_add_f64 v[158:159], v[86:87], v[158:159]
	v_mul_f64 v[174:175], v[244:245], s[20:21]
	v_fmac_f64_e32 v[26:27], s[18:19], v[212:213]
	v_mul_f64 v[24:25], v[206:207], s[50:51]
	v_fma_f64 v[148:149], s[18:19], v[196:197], v[152:153]
	v_add_f64 v[150:151], v[150:151], v[158:159]
	v_mul_f64 v[170:171], v[242:243], s[56:57]
	v_fma_f64 v[176:177], v[224:225], s[10:11], -v[174:175]
	v_add_f64 v[0:1], v[26:27], v[0:1]
	v_mul_f64 v[20:21], v[202:203], s[34:35]
	v_fma_f64 v[26:27], s[14:15], v[192:193], v[24:25]
	v_add_f64 v[148:149], v[148:149], v[150:151]
	v_mul_f64 v[166:167], v[240:241], s[44:45]
	v_fma_f64 v[172:173], v[222:223], s[22:23], -v[170:171]
	v_add_f64 v[176:177], v[84:85], v[176:177]
	v_fmac_f64_e32 v[18:19], s[28:29], v[210:211]
	v_mul_f64 v[16:17], v[198:199], s[48:49]
	v_fma_f64 v[22:23], s[28:29], v[188:189], v[20:21]
	v_add_f64 v[26:27], v[26:27], v[148:149]
	v_mul_f64 v[162:163], v[238:239], s[50:51]
	v_fma_f64 v[168:169], v[220:221], s[18:19], -v[166:167]
	v_add_f64 v[172:173], v[172:173], v[176:177]
	v_fmac_f64_e32 v[10:11], s[14:15], v[208:209]
	v_add_f64 v[0:1], v[18:19], v[0:1]
	v_mul_f64 v[12:13], v[194:195], s[40:41]
	v_fma_f64 v[18:19], s[2:3], v[186:187], v[16:17]
	v_add_f64 v[22:23], v[22:23], v[26:27]
	v_mul_f64 v[158:159], v[236:237], s[34:35]
	v_fma_f64 v[164:165], v[216:217], s[14:15], -v[162:163]
	v_add_f64 v[168:169], v[168:169], v[172:173]
	v_add_f64 v[144:145], v[10:11], v[0:1]
	v_mul_f64 v[0:1], v[190:191], s[26:27]
	v_fma_f64 v[14:15], s[24:25], v[184:185], v[12:13]
	v_add_f64 v[18:19], v[18:19], v[22:23]
	v_mul_f64 v[26:27], v[234:235], s[48:49]
	v_fma_f64 v[160:161], v[214:215], s[28:29], -v[158:159]
	v_add_f64 v[164:165], v[164:165], v[168:169]
	v_fma_f64 v[10:11], s[16:17], v[182:183], v[0:1]
	v_add_f64 v[14:15], v[14:15], v[18:19]
	v_mul_f64 v[18:19], v[232:233], s[40:41]
	v_fma_f64 v[148:149], v[212:213], s[2:3], -v[26:27]
	v_add_f64 v[160:161], v[160:161], v[164:165]
	v_add_f64 v[150:151], v[10:11], v[14:15]
	v_mul_f64 v[10:11], v[230:231], s[26:27]
	v_fma_f64 v[22:23], v[210:211], s[24:25], -v[18:19]
	v_add_f64 v[148:149], v[148:149], v[160:161]
	v_fma_f64 v[14:15], v[208:209], s[16:17], -v[10:11]
	v_add_f64 v[22:23], v[22:23], v[148:149]
	v_add_f64 v[148:149], v[14:15], v[22:23]
	v_fma_f64 v[22:23], v[196:197], s[18:19], -v[152:153]
	v_fma_f64 v[152:153], v[204:205], s[10:11], -v[156:157]
	;; [unrolled: 1-line block ×6, first 2 shown]
	v_add_f64 v[152:153], v[86:87], v[152:153]
	v_add_f64 v[24:25], v[24:25], v[152:153]
	;; [unrolled: 1-line block ×5, first 2 shown]
	v_fma_f64 v[12:13], v[184:185], s[24:25], -v[12:13]
	v_add_f64 v[14:15], v[14:15], v[16:17]
	v_fma_f64 v[0:1], v[182:183], s[16:17], -v[0:1]
	v_add_f64 v[12:13], v[12:13], v[14:15]
	v_fmac_f64_e32 v[174:175], s[10:11], v[224:225]
	v_add_f64 v[154:155], v[0:1], v[12:13]
	v_fmac_f64_e32 v[170:171], s[22:23], v[222:223]
	;; [unrolled: 2-line block ×4, first 2 shown]
	v_add_f64 v[0:1], v[166:167], v[0:1]
	v_mul_f64 v[164:165], v[228:229], s[42:43]
	v_fmac_f64_e32 v[158:159], s[28:29], v[214:215]
	v_add_f64 v[0:1], v[162:163], v[0:1]
	v_mul_f64 v[162:163], v[226:227], s[34:35]
	v_fma_f64 v[166:167], s[2:3], v[204:205], v[164:165]
	v_add_f64 v[0:1], v[158:159], v[0:1]
	v_mul_f64 v[160:161], v[218:219], s[52:53]
	v_fma_f64 v[158:159], s[28:29], v[200:201], v[162:163]
	v_add_f64 v[166:167], v[86:87], v[166:167]
	v_mul_f64 v[248:249], v[244:245], s[42:43]
	v_fmac_f64_e32 v[26:27], s[2:3], v[212:213]
	v_mul_f64 v[24:25], v[206:207], s[38:39]
	v_fma_f64 v[156:157], s[10:11], v[196:197], v[160:161]
	v_add_f64 v[158:159], v[158:159], v[166:167]
	v_mul_f64 v[180:181], v[242:243], s[34:35]
	v_fma_f64 v[250:251], v[224:225], s[2:3], -v[248:249]
	v_add_f64 v[0:1], v[26:27], v[0:1]
	v_mul_f64 v[20:21], v[202:203], s[50:51]
	v_fma_f64 v[26:27], s[24:25], v[192:193], v[24:25]
	v_add_f64 v[156:157], v[156:157], v[158:159]
	v_mul_f64 v[174:175], v[240:241], s[52:53]
	v_fma_f64 v[246:247], v[222:223], s[28:29], -v[180:181]
	v_add_f64 v[250:251], v[84:85], v[250:251]
	v_fmac_f64_e32 v[18:19], s[24:25], v[210:211]
	v_mul_f64 v[16:17], v[198:199], s[30:31]
	v_fma_f64 v[22:23], s[14:15], v[188:189], v[20:21]
	v_add_f64 v[26:27], v[26:27], v[156:157]
	v_mul_f64 v[170:171], v[238:239], s[38:39]
	v_fma_f64 v[176:177], v[220:221], s[10:11], -v[174:175]
	v_add_f64 v[246:247], v[246:247], v[250:251]
	v_fmac_f64_e32 v[10:11], s[16:17], v[208:209]
	v_add_f64 v[0:1], v[18:19], v[0:1]
	v_mul_f64 v[12:13], v[194:195], s[54:55]
	v_fma_f64 v[18:19], s[22:23], v[186:187], v[16:17]
	v_add_f64 v[22:23], v[22:23], v[26:27]
	v_mul_f64 v[166:167], v[236:237], s[50:51]
	v_fma_f64 v[172:173], v[216:217], s[24:25], -v[170:171]
	v_add_f64 v[176:177], v[176:177], v[246:247]
	v_add_f64 v[152:153], v[10:11], v[0:1]
	v_mul_f64 v[0:1], v[190:191], s[44:45]
	v_fma_f64 v[14:15], s[16:17], v[184:185], v[12:13]
	v_add_f64 v[18:19], v[18:19], v[22:23]
	v_mul_f64 v[26:27], v[234:235], s[30:31]
	v_fma_f64 v[168:169], v[214:215], s[14:15], -v[166:167]
	v_add_f64 v[172:173], v[172:173], v[176:177]
	v_fma_f64 v[10:11], s[18:19], v[182:183], v[0:1]
	v_add_f64 v[14:15], v[14:15], v[18:19]
	v_mul_f64 v[18:19], v[232:233], s[54:55]
	v_fma_f64 v[156:157], v[212:213], s[22:23], -v[26:27]
	v_add_f64 v[168:169], v[168:169], v[172:173]
	v_add_f64 v[158:159], v[10:11], v[14:15]
	v_mul_f64 v[10:11], v[230:231], s[44:45]
	v_fma_f64 v[22:23], v[210:211], s[16:17], -v[18:19]
	v_add_f64 v[156:157], v[156:157], v[168:169]
	v_fma_f64 v[14:15], v[208:209], s[18:19], -v[10:11]
	v_add_f64 v[22:23], v[22:23], v[156:157]
	v_add_f64 v[156:157], v[14:15], v[22:23]
	v_fma_f64 v[22:23], v[196:197], s[10:11], -v[160:161]
	v_fma_f64 v[160:161], v[204:205], s[2:3], -v[164:165]
	;; [unrolled: 1-line block ×6, first 2 shown]
	v_add_f64 v[160:161], v[86:87], v[160:161]
	v_add_f64 v[24:25], v[24:25], v[160:161]
	;; [unrolled: 1-line block ×5, first 2 shown]
	v_fma_f64 v[12:13], v[184:185], s[16:17], -v[12:13]
	v_add_f64 v[14:15], v[14:15], v[16:17]
	v_fma_f64 v[0:1], v[182:183], s[18:19], -v[0:1]
	v_add_f64 v[12:13], v[12:13], v[14:15]
	v_fmac_f64_e32 v[248:249], s[2:3], v[224:225]
	v_add_f64 v[162:163], v[0:1], v[12:13]
	v_fmac_f64_e32 v[180:181], s[28:29], v[222:223]
	;; [unrolled: 2-line block ×4, first 2 shown]
	v_add_f64 v[0:1], v[174:175], v[0:1]
	v_mul_f64 v[172:173], v[228:229], s[50:51]
	v_fmac_f64_e32 v[166:167], s[14:15], v[214:215]
	v_add_f64 v[0:1], v[170:171], v[0:1]
	s_mov_b32 s49, 0x3fc7851a
	s_mov_b32 s48, s34
	v_mul_f64 v[170:171], v[226:227], s[26:27]
	v_fma_f64 v[174:175], s[14:15], v[204:205], v[172:173]
	v_add_f64 v[0:1], v[166:167], v[0:1]
	v_mul_f64 v[168:169], v[218:219], s[48:49]
	v_fma_f64 v[166:167], s[16:17], v[200:201], v[170:171]
	v_add_f64 v[174:175], v[86:87], v[174:175]
	v_mul_f64 v[2:3], v[244:245], s[50:51]
	v_fmac_f64_e32 v[26:27], s[22:23], v[212:213]
	v_mul_f64 v[24:25], v[206:207], s[52:53]
	v_fma_f64 v[164:165], s[28:29], v[196:197], v[168:169]
	v_add_f64 v[166:167], v[166:167], v[174:175]
	v_mul_f64 v[252:253], v[242:243], s[26:27]
	v_fma_f64 v[6:7], v[224:225], s[14:15], -v[2:3]
	v_add_f64 v[0:1], v[26:27], v[0:1]
	v_mul_f64 v[20:21], v[202:203], s[44:45]
	v_fma_f64 v[26:27], s[10:11], v[192:193], v[24:25]
	v_add_f64 v[164:165], v[164:165], v[166:167]
	v_mul_f64 v[248:249], v[240:241], s[48:49]
	v_fma_f64 v[254:255], v[222:223], s[16:17], -v[252:253]
	v_add_f64 v[6:7], v[84:85], v[6:7]
	v_fmac_f64_e32 v[18:19], s[16:17], v[210:211]
	v_mul_f64 v[16:17], v[198:199], s[40:41]
	v_fma_f64 v[22:23], s[18:19], v[188:189], v[20:21]
	v_add_f64 v[26:27], v[26:27], v[164:165]
	v_mul_f64 v[180:181], v[238:239], s[52:53]
	v_fma_f64 v[250:251], v[220:221], s[28:29], -v[248:249]
	v_add_f64 v[6:7], v[254:255], v[6:7]
	v_fmac_f64_e32 v[10:11], s[18:19], v[208:209]
	v_add_f64 v[0:1], v[18:19], v[0:1]
	v_mul_f64 v[12:13], v[194:195], s[42:43]
	v_fma_f64 v[18:19], s[24:25], v[186:187], v[16:17]
	v_add_f64 v[22:23], v[22:23], v[26:27]
	v_mul_f64 v[176:177], v[236:237], s[44:45]
	v_fma_f64 v[246:247], v[216:217], s[10:11], -v[180:181]
	v_add_f64 v[6:7], v[250:251], v[6:7]
	v_add_f64 v[160:161], v[10:11], v[0:1]
	v_mul_f64 v[0:1], v[190:191], s[30:31]
	v_fma_f64 v[14:15], s[2:3], v[184:185], v[12:13]
	v_add_f64 v[18:19], v[18:19], v[22:23]
	v_mul_f64 v[26:27], v[234:235], s[40:41]
	v_fma_f64 v[174:175], v[214:215], s[18:19], -v[176:177]
	v_add_f64 v[6:7], v[246:247], v[6:7]
	v_fma_f64 v[10:11], s[22:23], v[182:183], v[0:1]
	v_add_f64 v[14:15], v[14:15], v[18:19]
	v_mul_f64 v[18:19], v[232:233], s[42:43]
	v_fma_f64 v[164:165], v[212:213], s[24:25], -v[26:27]
	v_add_f64 v[6:7], v[174:175], v[6:7]
	v_add_f64 v[166:167], v[10:11], v[14:15]
	v_mul_f64 v[10:11], v[230:231], s[30:31]
	v_fma_f64 v[22:23], v[210:211], s[2:3], -v[18:19]
	v_add_f64 v[6:7], v[164:165], v[6:7]
	v_fma_f64 v[14:15], v[208:209], s[22:23], -v[10:11]
	v_add_f64 v[6:7], v[22:23], v[6:7]
	v_add_f64 v[164:165], v[14:15], v[6:7]
	v_fma_f64 v[6:7], v[184:185], s[2:3], -v[12:13]
	v_fma_f64 v[12:13], v[186:187], s[24:25], -v[16:17]
	;; [unrolled: 1-line block ×5, first 2 shown]
	v_add_f64 v[24:25], v[86:87], v[24:25]
	v_fma_f64 v[14:15], v[188:189], s[18:19], -v[20:21]
	v_fma_f64 v[20:21], v[196:197], s[28:29], -v[168:169]
	v_add_f64 v[22:23], v[22:23], v[24:25]
	v_add_f64 v[20:21], v[20:21], v[22:23]
	;; [unrolled: 1-line block ×5, first 2 shown]
	v_fma_f64 v[0:1], v[182:183], s[22:23], -v[0:1]
	v_add_f64 v[6:7], v[6:7], v[12:13]
	v_fmac_f64_e32 v[2:3], s[14:15], v[224:225]
	v_add_f64 v[174:175], v[0:1], v[6:7]
	v_fmac_f64_e32 v[252:253], s[16:17], v[222:223]
	v_add_f64 v[0:1], v[84:85], v[2:3]
	v_fmac_f64_e32 v[248:249], s[28:29], v[220:221]
	v_add_f64 v[0:1], v[252:253], v[0:1]
	v_fmac_f64_e32 v[180:181], s[10:11], v[216:217]
	v_add_f64 v[0:1], v[248:249], v[0:1]
	v_fmac_f64_e32 v[176:177], s[18:19], v[214:215]
	v_add_f64 v[0:1], v[180:181], v[0:1]
	v_mul_f64 v[180:181], v[228:229], s[46:47]
	v_add_f64 v[0:1], v[176:177], v[0:1]
	v_mul_f64 v[176:177], v[226:227], s[42:43]
	v_fma_f64 v[170:171], s[18:19], v[204:205], v[180:181]
	v_accvgpr_write_b32 a43, v31
	v_fmac_f64_e32 v[26:27], s[24:25], v[212:213]
	v_mul_f64 v[24:25], v[218:219], s[26:27]
	v_fma_f64 v[168:169], s[2:3], v[200:201], v[176:177]
	v_add_f64 v[170:171], v[86:87], v[170:171]
	v_mul_f64 v[32:33], v[244:245], s[46:47]
	v_accvgpr_write_b32 a42, v30
	v_accvgpr_write_b32 a41, v29
	;; [unrolled: 1-line block ×3, first 2 shown]
	v_add_f64 v[0:1], v[26:27], v[0:1]
	v_mul_f64 v[20:21], v[206:207], s[34:35]
	v_fma_f64 v[26:27], s[16:17], v[196:197], v[24:25]
	v_add_f64 v[168:169], v[168:169], v[170:171]
	v_mul_f64 v[28:29], v[242:243], s[42:43]
	v_fma_f64 v[34:35], v[224:225], s[18:19], -v[32:33]
	v_fmac_f64_e32 v[18:19], s[2:3], v[210:211]
	v_mul_f64 v[16:17], v[202:203], s[56:57]
	v_fma_f64 v[22:23], s[28:29], v[192:193], v[20:21]
	v_add_f64 v[26:27], v[26:27], v[168:169]
	v_mul_f64 v[252:253], v[240:241], s[26:27]
	v_fma_f64 v[30:31], v[222:223], s[2:3], -v[28:29]
	v_add_f64 v[34:35], v[84:85], v[34:35]
	v_add_f64 v[0:1], v[18:19], v[0:1]
	v_mul_f64 v[12:13], v[198:199], s[52:53]
	v_fma_f64 v[18:19], s[22:23], v[188:189], v[16:17]
	v_add_f64 v[22:23], v[22:23], v[26:27]
	v_mul_f64 v[248:249], v[238:239], s[34:35]
	v_fma_f64 v[254:255], v[220:221], s[16:17], -v[252:253]
	v_add_f64 v[30:31], v[30:31], v[34:35]
	v_fmac_f64_e32 v[10:11], s[22:23], v[208:209]
	v_mul_f64 v[6:7], v[194:195], s[36:37]
	v_fma_f64 v[14:15], s[10:11], v[186:187], v[12:13]
	v_add_f64 v[18:19], v[18:19], v[22:23]
	v_mul_f64 v[246:247], v[236:237], s[56:57]
	v_fma_f64 v[250:251], v[216:217], s[28:29], -v[248:249]
	v_add_f64 v[30:31], v[254:255], v[30:31]
	v_add_f64 v[172:173], v[10:11], v[0:1]
	v_mul_f64 v[0:1], v[190:191], s[38:39]
	v_fma_f64 v[10:11], s[14:15], v[184:185], v[6:7]
	v_add_f64 v[14:15], v[14:15], v[18:19]
	v_mul_f64 v[22:23], v[234:235], s[52:53]
	v_fma_f64 v[168:169], v[214:215], s[22:23], -v[246:247]
	v_add_f64 v[30:31], v[250:251], v[30:31]
	v_fma_f64 v[2:3], s[24:25], v[182:183], v[0:1]
	v_add_f64 v[10:11], v[10:11], v[14:15]
	v_mul_f64 v[14:15], v[232:233], s[36:37]
	v_fma_f64 v[26:27], v[212:213], s[10:11], -v[22:23]
	v_add_f64 v[30:31], v[168:169], v[30:31]
	v_add_f64 v[170:171], v[2:3], v[10:11]
	v_mul_f64 v[2:3], v[230:231], s[38:39]
	v_fma_f64 v[18:19], v[210:211], s[14:15], -v[14:15]
	v_add_f64 v[26:27], v[26:27], v[30:31]
	v_fma_f64 v[10:11], v[208:209], s[24:25], -v[2:3]
	v_add_f64 v[18:19], v[18:19], v[26:27]
	v_add_f64 v[168:169], v[10:11], v[18:19]
	v_fma_f64 v[18:19], v[196:197], s[16:17], -v[24:25]
	v_fma_f64 v[24:25], v[204:205], s[18:19], -v[180:181]
	;; [unrolled: 1-line block ×6, first 2 shown]
	v_add_f64 v[24:25], v[86:87], v[24:25]
	v_add_f64 v[20:21], v[20:21], v[24:25]
	v_add_f64 v[18:19], v[18:19], v[20:21]
	v_add_f64 v[16:17], v[16:17], v[18:19]
	v_add_f64 v[12:13], v[12:13], v[16:17]
	v_fma_f64 v[6:7], v[184:185], s[14:15], -v[6:7]
	v_add_f64 v[10:11], v[10:11], v[12:13]
	v_fma_f64 v[0:1], v[182:183], s[24:25], -v[0:1]
	v_add_f64 v[6:7], v[6:7], v[10:11]
	v_fmac_f64_e32 v[32:33], s[18:19], v[224:225]
	v_add_f64 v[12:13], v[0:1], v[6:7]
	v_fmac_f64_e32 v[28:29], s[2:3], v[222:223]
	v_add_f64 v[0:1], v[84:85], v[32:33]
	v_mul_f64 v[176:177], v[228:229], s[40:41]
	v_fmac_f64_e32 v[252:253], s[16:17], v[220:221]
	v_add_f64 v[0:1], v[28:29], v[0:1]
	v_mul_f64 v[32:33], v[226:227], s[46:47]
	v_fma_f64 v[180:181], s[24:25], v[204:205], v[176:177]
	v_fmac_f64_e32 v[248:249], s[28:29], v[216:217]
	v_add_f64 v[0:1], v[252:253], v[0:1]
	v_mul_f64 v[28:29], v[218:219], s[50:51]
	v_fma_f64 v[34:35], s[18:19], v[200:201], v[32:33]
	v_add_f64 v[180:181], v[86:87], v[180:181]
	v_fmac_f64_e32 v[246:247], s[22:23], v[214:215]
	v_add_f64 v[0:1], v[248:249], v[0:1]
	v_mul_f64 v[24:25], v[206:207], s[42:43]
	v_fma_f64 v[30:31], s[14:15], v[196:197], v[28:29]
	v_add_f64 v[34:35], v[34:35], v[180:181]
	;; [unrolled: 5-line block ×5, first 2 shown]
	v_add_f64 v[10:11], v[2:3], v[0:1]
	v_mul_f64 v[0:1], v[190:191], s[34:35]
	v_fma_f64 v[14:15], s[22:23], v[184:185], v[6:7]
	v_add_f64 v[16:17], v[16:17], v[22:23]
	v_fma_f64 v[2:3], s[28:29], v[182:183], v[0:1]
	v_add_f64 v[14:15], v[14:15], v[16:17]
	v_mul_f64 v[228:229], v[244:245], s[40:41]
	v_add_f64 v[16:17], v[2:3], v[14:15]
	v_mul_f64 v[2:3], v[230:231], s[34:35]
	v_mul_f64 v[218:219], v[242:243], s[46:47]
	v_fma_f64 v[230:231], v[224:225], s[24:25], -v[228:229]
	v_mul_f64 v[202:203], v[240:241], s[50:51]
	v_fma_f64 v[226:227], v[222:223], s[18:19], -v[218:219]
	v_add_f64 v[230:231], v[84:85], v[230:231]
	v_mul_f64 v[194:195], v[238:239], s[42:43]
	v_fma_f64 v[206:207], v[220:221], s[14:15], -v[202:203]
	v_add_f64 v[226:227], v[226:227], v[230:231]
	;; [unrolled: 3-line block ×5, first 2 shown]
	v_fma_f64 v[26:27], v[210:211], s[22:23], -v[22:23]
	v_add_f64 v[34:35], v[34:35], v[190:191]
	v_fma_f64 v[14:15], v[208:209], s[28:29], -v[2:3]
	v_add_f64 v[26:27], v[26:27], v[34:35]
	v_add_f64 v[14:15], v[14:15], v[26:27]
	v_fma_f64 v[26:27], v[196:197], s[14:15], -v[28:29]
	v_fma_f64 v[28:29], v[200:201], s[18:19], -v[32:33]
	;; [unrolled: 1-line block ×3, first 2 shown]
	v_add_f64 v[32:33], v[86:87], v[32:33]
	v_add_f64 v[28:29], v[28:29], v[32:33]
	v_fma_f64 v[24:25], v[192:193], s[2:3], -v[24:25]
	v_add_f64 v[26:27], v[26:27], v[28:29]
	v_fma_f64 v[20:21], v[188:189], s[10:11], -v[20:21]
	;; [unrolled: 2-line block ×5, first 2 shown]
	v_add_f64 v[6:7], v[6:7], v[18:19]
	v_fmac_f64_e32 v[228:229], s[24:25], v[224:225]
	v_add_f64 v[20:21], v[0:1], v[6:7]
	v_fmac_f64_e32 v[218:219], s[18:19], v[222:223]
	;; [unrolled: 2-line block ×8, first 2 shown]
	v_add_f64 v[0:1], v[22:23], v[0:1]
	v_add_f64 v[18:19], v[2:3], v[0:1]
	;; [unrolled: 1-line block ×34, first 2 shown]
	v_accvgpr_read_b32 v0, a3
	v_lshl_add_u32 v0, v0, 4, v179
	v_accvgpr_read_b32 v57, a35
	v_accvgpr_read_b32 v53, a31
	;; [unrolled: 1-line block ×5, first 2 shown]
	ds_write_b128 v0, v[22:25]
	ds_write_b128 v0, v[18:21] offset:16
	ds_write_b128 v0, v[10:13] offset:32
	;; [unrolled: 1-line block ×7, first 2 shown]
	v_accvgpr_read_b32 v139, a15
	ds_write_b128 v0, v[128:131] offset:128
	ds_write_b128 v0, a[40:43] offset:144
	;; [unrolled: 1-line block ×3, first 2 shown]
	v_accvgpr_read_b32 v135, a11
	ds_write_b128 v0, v[148:151] offset:192
	v_accvgpr_read_b32 v151, a39
	v_accvgpr_read_b32 v47, a24
	;; [unrolled: 1-line block ×27, first 2 shown]
	ds_write_b128 v0, v[140:143] offset:176
	v_accvgpr_read_b32 v140, a25
	v_accvgpr_read_b32 v150, a38
	;; [unrolled: 1-line block ×4, first 2 shown]
	ds_write_b128 v0, v[156:159] offset:208
	ds_write_b128 v0, v[164:167] offset:224
	;; [unrolled: 1-line block ×4, first 2 shown]
.LBB0_13:
	s_or_b64 exec, exec, s[0:1]
	s_waitcnt lgkmcnt(0)
	s_barrier
	ds_read_b128 v[10:13], v4 offset:2720
	ds_read_b128 v[14:17], v4
	ds_read_b128 v[18:21], v4 offset:544
	ds_read_b128 v[22:25], v4 offset:3264
	;; [unrolled: 1-line block ×8, first 2 shown]
	s_waitcnt lgkmcnt(9)
	v_mul_f64 v[0:1], v[40:41], v[12:13]
	v_fmac_f64_e32 v[0:1], v[38:39], v[10:11]
	v_mul_f64 v[2:3], v[40:41], v[10:11]
	s_waitcnt lgkmcnt(6)
	v_mul_f64 v[10:11], v[36:37], v[22:23]
	v_mul_f64 v[6:7], v[36:37], v[24:25]
	v_fma_f64 v[24:25], v[34:35], v[24:25], -v[10:11]
	s_waitcnt lgkmcnt(5)
	v_mul_f64 v[10:11], v[134:135], v[84:85]
	v_fmac_f64_e32 v[6:7], v[34:35], v[22:23]
	v_mul_f64 v[26:27], v[134:135], v[86:87]
	v_fma_f64 v[28:29], v[132:133], v[86:87], -v[10:11]
	s_waitcnt lgkmcnt(1)
	v_mul_f64 v[34:35], v[44:45], v[102:103]
	v_mul_f64 v[10:11], v[44:45], v[100:101]
	v_fma_f64 v[2:3], v[38:39], v[12:13], -v[2:3]
	v_fmac_f64_e32 v[26:27], v[132:133], v[84:85]
	v_fmac_f64_e32 v[34:35], v[42:43], v[100:101]
	v_fma_f64 v[36:37], v[42:43], v[102:103], -v[10:11]
	s_waitcnt lgkmcnt(0)
	v_mul_f64 v[42:43], v[138:139], v[106:107]
	v_mul_f64 v[10:11], v[138:139], v[104:105]
	v_fmac_f64_e32 v[42:43], v[136:137], v[104:105]
	v_fma_f64 v[44:45], v[136:137], v[106:107], -v[10:11]
	v_add_f64 v[10:11], v[14:15], -v[0:1]
	v_add_f64 v[12:13], v[16:17], -v[2:3]
	;; [unrolled: 1-line block ×8, first 2 shown]
	v_fma_f64 v[14:15], v[14:15], 2.0, -v[10:11]
	v_fma_f64 v[16:17], v[16:17], 2.0, -v[12:13]
	;; [unrolled: 1-line block ×8, first 2 shown]
	v_add_f64 v[42:43], v[96:97], -v[42:43]
	v_add_f64 v[44:45], v[98:99], -v[44:45]
	v_fma_f64 v[84:85], v[96:97], 2.0, -v[42:43]
	v_fma_f64 v[86:87], v[98:99], 2.0, -v[44:45]
	s_barrier
	ds_write_b128 v46, v[14:17]
	ds_write_b128 v46, v[10:13] offset:272
	ds_write_b128 v47, v[18:21]
	ds_write_b128 v47, v[22:25] offset:272
	;; [unrolled: 2-line block ×5, first 2 shown]
	s_waitcnt lgkmcnt(0)
	s_barrier
	ds_read_b128 v[0:3], v4
	ds_read_b128 v[10:13], v4 offset:544
	ds_read_b128 v[14:17], v4 offset:1088
	;; [unrolled: 1-line block ×9, first 2 shown]
	s_waitcnt lgkmcnt(8)
	v_mul_f64 v[6:7], v[62:63], v[10:11]
	v_mul_f64 v[4:5], v[62:63], v[12:13]
	v_fma_f64 v[6:7], v[60:61], v[12:13], -v[6:7]
	s_waitcnt lgkmcnt(7)
	v_mul_f64 v[12:13], v[150:151], v[14:15]
	v_fmac_f64_e32 v[4:5], v[60:61], v[10:11]
	v_mul_f64 v[10:11], v[150:151], v[16:17]
	v_fma_f64 v[12:13], v[148:149], v[16:17], -v[12:13]
	s_waitcnt lgkmcnt(6)
	v_mul_f64 v[16:17], v[56:57], v[18:19]
	v_fmac_f64_e32 v[10:11], v[148:149], v[14:15]
	;; [unrolled: 5-line block ×8, first 2 shown]
	v_mul_f64 v[38:39], v[82:83], v[44:45]
	v_fma_f64 v[40:41], v[80:81], v[44:45], -v[40:41]
	v_add_f64 v[44:45], v[18:19], v[26:27]
	s_mov_b32 s16, 0x134454ff
	v_fma_f64 v[44:45], -0.5, v[44:45], v[0:1]
	v_add_f64 v[46:47], v[12:13], -v[36:37]
	s_mov_b32 s17, 0xbfee6f0e
	s_mov_b32 s14, 0x4755a5e
	;; [unrolled: 1-line block ×4, first 2 shown]
	v_fma_f64 v[48:49], s[16:17], v[46:47], v[44:45]
	v_add_f64 v[50:51], v[20:21], -v[28:29]
	s_mov_b32 s15, 0xbfe2cf23
	v_add_f64 v[52:53], v[10:11], -v[18:19]
	v_add_f64 v[54:55], v[34:35], -v[26:27]
	s_mov_b32 s10, 0x372fe950
	v_fmac_f64_e32 v[44:45], s[2:3], v[46:47]
	s_mov_b32 s1, 0x3fe2cf23
	s_mov_b32 s0, s14
	v_fmac_f64_e32 v[48:49], s[14:15], v[50:51]
	v_add_f64 v[52:53], v[52:53], v[54:55]
	s_mov_b32 s11, 0x3fd3c6ef
	v_fmac_f64_e32 v[44:45], s[0:1], v[50:51]
	v_fmac_f64_e32 v[48:49], s[10:11], v[52:53]
	;; [unrolled: 1-line block ×3, first 2 shown]
	v_add_f64 v[52:53], v[10:11], v[34:35]
	v_fmac_f64_e32 v[38:39], v[80:81], v[42:43]
	v_add_f64 v[42:43], v[0:1], v[10:11]
	v_fmac_f64_e32 v[0:1], -0.5, v[52:53]
	v_add_f64 v[42:43], v[42:43], v[18:19]
	v_fma_f64 v[52:53], s[2:3], v[50:51], v[0:1]
	v_add_f64 v[54:55], v[18:19], -v[10:11]
	v_add_f64 v[56:57], v[26:27], -v[34:35]
	v_fmac_f64_e32 v[0:1], s[16:17], v[50:51]
	v_add_f64 v[50:51], v[20:21], v[28:29]
	v_add_f64 v[42:43], v[42:43], v[26:27]
	v_fmac_f64_e32 v[52:53], s[14:15], v[46:47]
	v_add_f64 v[54:55], v[54:55], v[56:57]
	v_fmac_f64_e32 v[0:1], s[0:1], v[46:47]
	v_fma_f64 v[50:51], -0.5, v[50:51], v[2:3]
	v_add_f64 v[10:11], v[10:11], -v[34:35]
	v_add_f64 v[42:43], v[42:43], v[34:35]
	v_fmac_f64_e32 v[52:53], s[10:11], v[54:55]
	v_fmac_f64_e32 v[0:1], s[10:11], v[54:55]
	v_fma_f64 v[54:55], s[2:3], v[10:11], v[50:51]
	v_add_f64 v[18:19], v[18:19], -v[26:27]
	v_add_f64 v[26:27], v[12:13], -v[20:21]
	;; [unrolled: 1-line block ×3, first 2 shown]
	v_fmac_f64_e32 v[50:51], s[16:17], v[10:11]
	v_fmac_f64_e32 v[54:55], s[0:1], v[18:19]
	v_add_f64 v[26:27], v[26:27], v[34:35]
	v_fmac_f64_e32 v[50:51], s[14:15], v[18:19]
	v_fmac_f64_e32 v[54:55], s[10:11], v[26:27]
	v_fmac_f64_e32 v[50:51], s[10:11], v[26:27]
	v_add_f64 v[26:27], v[12:13], v[36:37]
	v_add_f64 v[46:47], v[2:3], v[12:13]
	v_fmac_f64_e32 v[2:3], -0.5, v[26:27]
	v_fma_f64 v[56:57], s[16:17], v[18:19], v[2:3]
	v_fmac_f64_e32 v[2:3], s[2:3], v[18:19]
	v_fmac_f64_e32 v[56:57], s[0:1], v[10:11]
	;; [unrolled: 1-line block ×3, first 2 shown]
	v_add_f64 v[10:11], v[4:5], v[14:15]
	v_add_f64 v[10:11], v[10:11], v[22:23]
	;; [unrolled: 1-line block ×4, first 2 shown]
	v_add_f64 v[12:13], v[20:21], -v[12:13]
	v_add_f64 v[20:21], v[28:29], -v[36:37]
	v_add_f64 v[34:35], v[10:11], v[38:39]
	v_add_f64 v[10:11], v[22:23], v[30:31]
	;; [unrolled: 1-line block ×4, first 2 shown]
	v_fma_f64 v[28:29], -0.5, v[10:11], v[4:5]
	v_add_f64 v[10:11], v[16:17], -v[40:41]
	v_fmac_f64_e32 v[56:57], s[10:11], v[12:13]
	v_fmac_f64_e32 v[2:3], s[10:11], v[12:13]
	v_fma_f64 v[20:21], s[16:17], v[10:11], v[28:29]
	v_add_f64 v[12:13], v[24:25], -v[32:33]
	v_add_f64 v[18:19], v[14:15], -v[22:23]
	v_add_f64 v[26:27], v[38:39], -v[30:31]
	v_fmac_f64_e32 v[28:29], s[2:3], v[10:11]
	v_fmac_f64_e32 v[20:21], s[14:15], v[12:13]
	v_add_f64 v[18:19], v[18:19], v[26:27]
	v_fmac_f64_e32 v[28:29], s[0:1], v[12:13]
	v_fmac_f64_e32 v[20:21], s[10:11], v[18:19]
	;; [unrolled: 1-line block ×3, first 2 shown]
	v_add_f64 v[18:19], v[14:15], v[38:39]
	v_fmac_f64_e32 v[4:5], -0.5, v[18:19]
	v_add_f64 v[46:47], v[46:47], v[36:37]
	v_fma_f64 v[36:37], s[2:3], v[12:13], v[4:5]
	v_fmac_f64_e32 v[4:5], s[16:17], v[12:13]
	v_fmac_f64_e32 v[36:37], s[14:15], v[10:11]
	;; [unrolled: 1-line block ×3, first 2 shown]
	v_add_f64 v[10:11], v[6:7], v[16:17]
	v_add_f64 v[10:11], v[10:11], v[24:25]
	v_add_f64 v[10:11], v[10:11], v[32:33]
	v_add_f64 v[18:19], v[22:23], -v[14:15]
	v_add_f64 v[26:27], v[30:31], -v[38:39]
	v_add_f64 v[58:59], v[10:11], v[40:41]
	v_add_f64 v[10:11], v[24:25], v[32:33]
	;; [unrolled: 1-line block ×3, first 2 shown]
	v_fma_f64 v[60:61], -0.5, v[10:11], v[6:7]
	v_add_f64 v[10:11], v[14:15], -v[38:39]
	v_fmac_f64_e32 v[36:37], s[10:11], v[18:19]
	v_fmac_f64_e32 v[4:5], s[10:11], v[18:19]
	v_fma_f64 v[38:39], s[2:3], v[10:11], v[60:61]
	v_add_f64 v[12:13], v[22:23], -v[30:31]
	v_add_f64 v[14:15], v[16:17], -v[24:25]
	;; [unrolled: 1-line block ×3, first 2 shown]
	v_fmac_f64_e32 v[60:61], s[16:17], v[10:11]
	v_fmac_f64_e32 v[38:39], s[0:1], v[12:13]
	v_add_f64 v[14:15], v[14:15], v[18:19]
	v_fmac_f64_e32 v[60:61], s[14:15], v[12:13]
	v_fmac_f64_e32 v[38:39], s[10:11], v[14:15]
	;; [unrolled: 1-line block ×3, first 2 shown]
	v_add_f64 v[14:15], v[16:17], v[40:41]
	v_fmac_f64_e32 v[6:7], -0.5, v[14:15]
	v_fma_f64 v[30:31], s[16:17], v[12:13], v[6:7]
	v_add_f64 v[14:15], v[24:25], -v[16:17]
	v_add_f64 v[16:17], v[32:33], -v[40:41]
	v_fmac_f64_e32 v[6:7], s[2:3], v[12:13]
	v_fmac_f64_e32 v[30:31], s[0:1], v[10:11]
	v_add_f64 v[14:15], v[14:15], v[16:17]
	v_fmac_f64_e32 v[6:7], s[14:15], v[10:11]
	v_fmac_f64_e32 v[30:31], s[10:11], v[14:15]
	;; [unrolled: 1-line block ×3, first 2 shown]
	s_mov_b32 s18, 0x9b97f4a8
	v_mul_f64 v[32:33], v[38:39], s[14:15]
	s_mov_b32 s19, 0x3fe9e377
	v_mul_f64 v[40:41], v[30:31], s[16:17]
	v_mul_f64 v[62:63], v[6:7], s[16:17]
	s_mov_b32 s17, 0xbfd3c6ef
	s_mov_b32 s16, s10
	v_mul_f64 v[64:65], v[60:61], s[14:15]
	s_mov_b32 s15, 0xbfe9e377
	s_mov_b32 s14, s18
	v_mul_f64 v[66:67], v[38:39], s[18:19]
	v_mul_f64 v[68:69], v[30:31], s[10:11]
	;; [unrolled: 1-line block ×4, first 2 shown]
	v_add_f64 v[10:11], v[42:43], v[34:35]
	v_fmac_f64_e32 v[32:33], s[18:19], v[20:21]
	v_fmac_f64_e32 v[40:41], s[10:11], v[36:37]
	;; [unrolled: 1-line block ×4, first 2 shown]
	v_add_f64 v[12:13], v[46:47], v[58:59]
	v_fmac_f64_e32 v[66:67], s[0:1], v[20:21]
	v_fmac_f64_e32 v[68:69], s[2:3], v[36:37]
	;; [unrolled: 1-line block ×4, first 2 shown]
	v_add_f64 v[14:15], v[48:49], v[32:33]
	v_add_f64 v[18:19], v[52:53], v[40:41]
	;; [unrolled: 1-line block ×8, first 2 shown]
	v_add_f64 v[4:5], v[42:43], -v[34:35]
	v_add_f64 v[30:31], v[48:49], -v[32:33]
	;; [unrolled: 1-line block ×10, first 2 shown]
	ds_write_b128 v9, v[10:13]
	ds_write_b128 v8, v[14:17] offset:544
	ds_write_b128 v8, v[18:21] offset:1088
	;; [unrolled: 1-line block ×9, first 2 shown]
	s_waitcnt lgkmcnt(0)
	s_barrier
	s_and_b64 exec, exec, vcc
	s_cbranch_execz .LBB0_15
; %bb.14:
	global_load_dwordx4 v[2:5], v178, s[8:9]
	v_mad_u64_u32 v[6:7], s[0:1], s6, v146, 0
	ds_read_b128 v[10:13], v9
	ds_read_b128 v[14:17], v8 offset:320
	v_mov_b32_e32 v20, v7
	v_mad_u64_u32 v[18:19], s[2:3], s4, v144, 0
	v_mad_u64_u32 v[20:21], s[2:3], s7, v146, v[20:21]
	v_mov_b32_e32 v0, s12
	v_mov_b32_e32 v1, s13
	;; [unrolled: 1-line block ×4, first 2 shown]
	s_mov_b32 s0, 0x18181818
	v_mad_u64_u32 v[22:23], s[2:3], s5, v144, v[22:23]
	v_lshl_add_u64 v[0:1], v[6:7], 4, v[0:1]
	s_mov_b32 s1, 0x3f681818
	v_mov_b32_e32 v19, v22
	v_lshl_add_u64 v[18:19], v[18:19], 4, v[0:1]
	s_mul_i32 s2, s5, 0x140
	s_mul_i32 s3, s5, 0x280
	v_mov_b32_e32 v179, 0
	s_waitcnt vmcnt(0) lgkmcnt(1)
	v_mul_f64 v[6:7], v[12:13], v[4:5]
	v_mul_f64 v[4:5], v[10:11], v[4:5]
	v_fmac_f64_e32 v[6:7], v[10:11], v[2:3]
	v_fma_f64 v[4:5], v[2:3], v[12:13], -v[4:5]
	v_mul_f64 v[2:3], v[6:7], s[0:1]
	v_mul_f64 v[4:5], v[4:5], s[0:1]
	global_store_dwordx4 v[18:19], v[2:5], off
	global_load_dwordx4 v[4:7], v178, s[8:9] offset:320
	s_waitcnt vmcnt(0) lgkmcnt(0)
	v_mul_f64 v[10:11], v[16:17], v[6:7]
	v_mov_b32_e32 v2, 0x140
	v_mul_f64 v[6:7], v[14:15], v[6:7]
	v_mad_u64_u32 v[18:19], s[6:7], s4, v2, v[18:19]
	v_fmac_f64_e32 v[10:11], v[14:15], v[4:5]
	v_fma_f64 v[6:7], v[4:5], v[16:17], -v[6:7]
	v_add_u32_e32 v19, s2, v19
	v_mul_f64 v[4:5], v[10:11], s[0:1]
	v_mul_f64 v[6:7], v[6:7], s[0:1]
	global_store_dwordx4 v[18:19], v[4:7], off
	global_load_dwordx4 v[4:7], v178, s[8:9] offset:640
	ds_read_b128 v[10:13], v8 offset:640
	ds_read_b128 v[14:17], v8 offset:960
	v_mad_u64_u32 v[18:19], s[6:7], s4, v2, v[18:19]
	v_add_u32_e32 v19, s2, v19
	v_or_b32_e32 v3, 0xa0, v144
	s_waitcnt vmcnt(0) lgkmcnt(1)
	v_mul_f64 v[20:21], v[12:13], v[6:7]
	v_mul_f64 v[6:7], v[10:11], v[6:7]
	v_fmac_f64_e32 v[20:21], v[10:11], v[4:5]
	v_fma_f64 v[6:7], v[4:5], v[12:13], -v[6:7]
	v_mul_f64 v[4:5], v[20:21], s[0:1]
	v_mul_f64 v[6:7], v[6:7], s[0:1]
	global_store_dwordx4 v[18:19], v[4:7], off
	global_load_dwordx4 v[4:7], v178, s[8:9] offset:960
	v_mad_u64_u32 v[18:19], s[6:7], s4, v2, v[18:19]
	v_add_u32_e32 v19, s2, v19
	s_waitcnt vmcnt(0) lgkmcnt(0)
	v_mul_f64 v[10:11], v[16:17], v[6:7]
	v_mul_f64 v[6:7], v[14:15], v[6:7]
	v_fmac_f64_e32 v[10:11], v[14:15], v[4:5]
	v_fma_f64 v[6:7], v[4:5], v[16:17], -v[6:7]
	v_mul_f64 v[4:5], v[10:11], s[0:1]
	v_mul_f64 v[6:7], v[6:7], s[0:1]
	global_store_dwordx4 v[18:19], v[4:7], off
	global_load_dwordx4 v[4:7], v178, s[8:9] offset:1280
	ds_read_b128 v[10:13], v8 offset:1280
	ds_read_b128 v[14:17], v8 offset:1600
	v_mad_u64_u32 v[18:19], s[6:7], s4, v2, v[18:19]
	v_add_u32_e32 v19, s2, v19
	s_waitcnt vmcnt(0) lgkmcnt(1)
	v_mul_f64 v[20:21], v[12:13], v[6:7]
	v_mul_f64 v[6:7], v[10:11], v[6:7]
	v_fmac_f64_e32 v[20:21], v[10:11], v[4:5]
	v_fma_f64 v[6:7], v[4:5], v[12:13], -v[6:7]
	v_mul_f64 v[4:5], v[20:21], s[0:1]
	v_mul_f64 v[6:7], v[6:7], s[0:1]
	global_store_dwordx4 v[18:19], v[4:7], off
	global_load_dwordx4 v[4:7], v178, s[8:9] offset:1600
	v_mad_u64_u32 v[18:19], s[6:7], s4, v2, v[18:19]
	v_add_u32_e32 v19, s2, v19
	s_waitcnt vmcnt(0) lgkmcnt(0)
	v_mul_f64 v[10:11], v[16:17], v[6:7]
	v_mul_f64 v[6:7], v[14:15], v[6:7]
	v_fmac_f64_e32 v[10:11], v[14:15], v[4:5]
	v_fma_f64 v[6:7], v[4:5], v[16:17], -v[6:7]
	v_mul_f64 v[4:5], v[10:11], s[0:1]
	v_mul_f64 v[6:7], v[6:7], s[0:1]
	global_store_dwordx4 v[18:19], v[4:7], off
	global_load_dwordx4 v[4:7], v178, s[8:9] offset:1920
	ds_read_b128 v[10:13], v8 offset:1920
	ds_read_b128 v[14:17], v8 offset:2240
	v_mad_u64_u32 v[18:19], s[6:7], s4, v2, v[18:19]
	v_add_u32_e32 v19, s2, v19
	s_waitcnt vmcnt(0) lgkmcnt(1)
	v_mul_f64 v[20:21], v[12:13], v[6:7]
	v_mul_f64 v[6:7], v[10:11], v[6:7]
	v_fmac_f64_e32 v[20:21], v[10:11], v[4:5]
	v_fma_f64 v[6:7], v[4:5], v[12:13], -v[6:7]
	v_mul_f64 v[4:5], v[20:21], s[0:1]
	v_mul_f64 v[6:7], v[6:7], s[0:1]
	global_store_dwordx4 v[18:19], v[4:7], off
	global_load_dwordx4 v[4:7], v178, s[8:9] offset:2240
	v_mad_u64_u32 v[18:19], s[6:7], s4, v2, v[18:19]
	v_add_u32_e32 v19, s2, v19
	v_mad_u64_u32 v[20:21], s[6:7], s4, v3, 0
	v_mov_b32_e32 v22, v21
	v_mad_u64_u32 v[22:23], s[6:7], s5, v3, v[22:23]
	v_mov_b32_e32 v21, v22
	v_lshl_add_u64 v[20:21], v[20:21], 4, v[0:1]
	v_mov_b32_e32 v3, 0x280
	s_waitcnt vmcnt(0) lgkmcnt(0)
	v_mul_f64 v[10:11], v[16:17], v[6:7]
	v_mul_f64 v[6:7], v[14:15], v[6:7]
	v_fmac_f64_e32 v[10:11], v[14:15], v[4:5]
	v_fma_f64 v[6:7], v[4:5], v[16:17], -v[6:7]
	v_mul_f64 v[4:5], v[10:11], s[0:1]
	v_mul_f64 v[6:7], v[6:7], s[0:1]
	global_store_dwordx4 v[18:19], v[4:7], off
	global_load_dwordx4 v[4:7], v178, s[8:9] offset:2560
	ds_read_b128 v[10:13], v8 offset:2560
	ds_read_b128 v[14:17], v8 offset:2880
	v_mad_u64_u32 v[18:19], s[6:7], s4, v3, v[18:19]
	v_add_u32_e32 v19, s3, v19
	s_movk_i32 s3, 0x1000
	s_waitcnt vmcnt(0) lgkmcnt(1)
	v_mul_f64 v[22:23], v[12:13], v[6:7]
	v_mul_f64 v[6:7], v[10:11], v[6:7]
	v_fmac_f64_e32 v[22:23], v[10:11], v[4:5]
	v_fma_f64 v[6:7], v[4:5], v[12:13], -v[6:7]
	v_mul_f64 v[4:5], v[22:23], s[0:1]
	v_mul_f64 v[6:7], v[6:7], s[0:1]
	global_store_dwordx4 v[20:21], v[4:7], off
	global_load_dwordx4 v[4:7], v178, s[8:9] offset:2880
	s_waitcnt vmcnt(0) lgkmcnt(0)
	v_mul_f64 v[10:11], v[16:17], v[6:7]
	v_mul_f64 v[6:7], v[14:15], v[6:7]
	v_fmac_f64_e32 v[10:11], v[14:15], v[4:5]
	v_fma_f64 v[6:7], v[4:5], v[16:17], -v[6:7]
	v_mul_f64 v[4:5], v[10:11], s[0:1]
	v_mul_f64 v[6:7], v[6:7], s[0:1]
	global_store_dwordx4 v[18:19], v[4:7], off
	global_load_dwordx4 v[4:7], v178, s[8:9] offset:3200
	ds_read_b128 v[10:13], v8 offset:3200
	ds_read_b128 v[14:17], v8 offset:3520
	v_mad_u64_u32 v[18:19], s[6:7], s4, v2, v[18:19]
	v_add_u32_e32 v19, s2, v19
	s_waitcnt vmcnt(0) lgkmcnt(1)
	v_mul_f64 v[20:21], v[12:13], v[6:7]
	v_mul_f64 v[6:7], v[10:11], v[6:7]
	v_fmac_f64_e32 v[20:21], v[10:11], v[4:5]
	v_fma_f64 v[6:7], v[4:5], v[12:13], -v[6:7]
	v_mul_f64 v[4:5], v[20:21], s[0:1]
	v_mul_f64 v[6:7], v[6:7], s[0:1]
	global_store_dwordx4 v[18:19], v[4:7], off
	global_load_dwordx4 v[4:7], v178, s[8:9] offset:3520
	v_mad_u64_u32 v[18:19], s[6:7], s4, v2, v[18:19]
	v_add_u32_e32 v19, s2, v19
	v_lshl_add_u64 v[20:21], s[8:9], 0, v[178:179]
	v_add_co_u32_e32 v20, vcc, s3, v20
	s_waitcnt vmcnt(0) lgkmcnt(0)
	v_mul_f64 v[10:11], v[16:17], v[6:7]
	v_mul_f64 v[6:7], v[14:15], v[6:7]
	v_fmac_f64_e32 v[10:11], v[14:15], v[4:5]
	v_fma_f64 v[6:7], v[4:5], v[16:17], -v[6:7]
	v_mul_f64 v[4:5], v[10:11], s[0:1]
	v_mul_f64 v[6:7], v[6:7], s[0:1]
	global_store_dwordx4 v[18:19], v[4:7], off
	global_load_dwordx4 v[4:7], v178, s[8:9] offset:3840
	ds_read_b128 v[10:13], v8 offset:3840
	ds_read_b128 v[14:17], v8 offset:4160
	v_mad_u64_u32 v[18:19], s[6:7], s4, v2, v[18:19]
	v_add_u32_e32 v19, s2, v19
	v_addc_co_u32_e32 v21, vcc, 0, v21, vcc
	s_waitcnt vmcnt(0) lgkmcnt(1)
	v_mul_f64 v[22:23], v[12:13], v[6:7]
	v_mul_f64 v[6:7], v[10:11], v[6:7]
	v_fmac_f64_e32 v[22:23], v[10:11], v[4:5]
	v_fma_f64 v[6:7], v[4:5], v[12:13], -v[6:7]
	v_mul_f64 v[4:5], v[22:23], s[0:1]
	v_mul_f64 v[6:7], v[6:7], s[0:1]
	global_store_dwordx4 v[18:19], v[4:7], off
	global_load_dwordx4 v[4:7], v[20:21], off offset:64
	v_mad_u64_u32 v[18:19], s[6:7], s4, v2, v[18:19]
	v_add_u32_e32 v19, s2, v19
	s_waitcnt vmcnt(0) lgkmcnt(0)
	v_mul_f64 v[10:11], v[16:17], v[6:7]
	v_mul_f64 v[6:7], v[14:15], v[6:7]
	v_fmac_f64_e32 v[10:11], v[14:15], v[4:5]
	v_fma_f64 v[6:7], v[4:5], v[16:17], -v[6:7]
	v_mul_f64 v[4:5], v[10:11], s[0:1]
	v_mul_f64 v[6:7], v[6:7], s[0:1]
	global_store_dwordx4 v[18:19], v[4:7], off
	global_load_dwordx4 v[4:7], v[20:21], off offset:384
	ds_read_b128 v[10:13], v8 offset:4480
	ds_read_b128 v[14:17], v8 offset:4800
	v_mad_u64_u32 v[18:19], s[6:7], s4, v2, v[18:19]
	v_add_u32_e32 v19, s2, v19
	s_waitcnt vmcnt(0) lgkmcnt(1)
	v_mul_f64 v[22:23], v[12:13], v[6:7]
	v_mul_f64 v[6:7], v[10:11], v[6:7]
	v_fmac_f64_e32 v[22:23], v[10:11], v[4:5]
	v_fma_f64 v[6:7], v[4:5], v[12:13], -v[6:7]
	v_mul_f64 v[4:5], v[22:23], s[0:1]
	v_mul_f64 v[6:7], v[6:7], s[0:1]
	global_store_dwordx4 v[18:19], v[4:7], off
	global_load_dwordx4 v[4:7], v[20:21], off offset:704
	v_mad_u64_u32 v[10:11], s[6:7], s4, v2, v[18:19]
	v_or_b32_e32 v13, 0x140, v144
	v_add_u32_e32 v11, s2, v11
	v_lshlrev_b32_e32 v9, 4, v13
	s_waitcnt vmcnt(0) lgkmcnt(0)
	v_mul_f64 v[2:3], v[16:17], v[6:7]
	v_mul_f64 v[6:7], v[14:15], v[6:7]
	v_fmac_f64_e32 v[2:3], v[14:15], v[4:5]
	v_fma_f64 v[4:5], v[4:5], v[16:17], -v[6:7]
	v_mul_f64 v[2:3], v[2:3], s[0:1]
	v_mul_f64 v[4:5], v[4:5], s[0:1]
	global_store_dwordx4 v[10:11], v[2:5], off
	global_load_dwordx4 v[2:5], v9, s[8:9]
	ds_read_b128 v[6:9], v8 offset:5120
	v_mad_u64_u32 v[10:11], s[2:3], s4, v13, 0
	v_mov_b32_e32 v12, v11
	v_mad_u64_u32 v[12:13], s[2:3], s5, v13, v[12:13]
	v_mov_b32_e32 v11, v12
	v_lshl_add_u64 v[0:1], v[10:11], 4, v[0:1]
	s_waitcnt vmcnt(0) lgkmcnt(0)
	v_mul_f64 v[12:13], v[8:9], v[4:5]
	v_mul_f64 v[4:5], v[6:7], v[4:5]
	v_fmac_f64_e32 v[12:13], v[6:7], v[2:3]
	v_fma_f64 v[4:5], v[2:3], v[8:9], -v[4:5]
	v_mul_f64 v[2:3], v[12:13], s[0:1]
	v_mul_f64 v[4:5], v[4:5], s[0:1]
	global_store_dwordx4 v[0:1], v[2:5], off
.LBB0_15:
	s_endpgm
	.section	.rodata,"a",@progbits
	.p2align	6, 0x0
	.amdhsa_kernel bluestein_single_back_len340_dim1_dp_op_CI_CI
		.amdhsa_group_segment_fixed_size 16320
		.amdhsa_private_segment_fixed_size 0
		.amdhsa_kernarg_size 104
		.amdhsa_user_sgpr_count 2
		.amdhsa_user_sgpr_dispatch_ptr 0
		.amdhsa_user_sgpr_queue_ptr 0
		.amdhsa_user_sgpr_kernarg_segment_ptr 1
		.amdhsa_user_sgpr_dispatch_id 0
		.amdhsa_user_sgpr_kernarg_preload_length 0
		.amdhsa_user_sgpr_kernarg_preload_offset 0
		.amdhsa_user_sgpr_private_segment_size 0
		.amdhsa_uses_dynamic_stack 0
		.amdhsa_enable_private_segment 0
		.amdhsa_system_sgpr_workgroup_id_x 1
		.amdhsa_system_sgpr_workgroup_id_y 0
		.amdhsa_system_sgpr_workgroup_id_z 0
		.amdhsa_system_sgpr_workgroup_info 0
		.amdhsa_system_vgpr_workitem_id 0
		.amdhsa_next_free_vgpr 414
		.amdhsa_next_free_sgpr 60
		.amdhsa_accum_offset 256
		.amdhsa_reserve_vcc 1
		.amdhsa_float_round_mode_32 0
		.amdhsa_float_round_mode_16_64 0
		.amdhsa_float_denorm_mode_32 3
		.amdhsa_float_denorm_mode_16_64 3
		.amdhsa_dx10_clamp 1
		.amdhsa_ieee_mode 1
		.amdhsa_fp16_overflow 0
		.amdhsa_tg_split 0
		.amdhsa_exception_fp_ieee_invalid_op 0
		.amdhsa_exception_fp_denorm_src 0
		.amdhsa_exception_fp_ieee_div_zero 0
		.amdhsa_exception_fp_ieee_overflow 0
		.amdhsa_exception_fp_ieee_underflow 0
		.amdhsa_exception_fp_ieee_inexact 0
		.amdhsa_exception_int_div_zero 0
	.end_amdhsa_kernel
	.text
.Lfunc_end0:
	.size	bluestein_single_back_len340_dim1_dp_op_CI_CI, .Lfunc_end0-bluestein_single_back_len340_dim1_dp_op_CI_CI
                                        ; -- End function
	.section	.AMDGPU.csdata,"",@progbits
; Kernel info:
; codeLenInByte = 25172
; NumSgprs: 66
; NumVgprs: 256
; NumAgprs: 158
; TotalNumVgprs: 414
; ScratchSize: 0
; MemoryBound: 0
; FloatMode: 240
; IeeeMode: 1
; LDSByteSize: 16320 bytes/workgroup (compile time only)
; SGPRBlocks: 8
; VGPRBlocks: 51
; NumSGPRsForWavesPerEU: 66
; NumVGPRsForWavesPerEU: 414
; AccumOffset: 256
; Occupancy: 1
; WaveLimiterHint : 1
; COMPUTE_PGM_RSRC2:SCRATCH_EN: 0
; COMPUTE_PGM_RSRC2:USER_SGPR: 2
; COMPUTE_PGM_RSRC2:TRAP_HANDLER: 0
; COMPUTE_PGM_RSRC2:TGID_X_EN: 1
; COMPUTE_PGM_RSRC2:TGID_Y_EN: 0
; COMPUTE_PGM_RSRC2:TGID_Z_EN: 0
; COMPUTE_PGM_RSRC2:TIDIG_COMP_CNT: 0
; COMPUTE_PGM_RSRC3_GFX90A:ACCUM_OFFSET: 63
; COMPUTE_PGM_RSRC3_GFX90A:TG_SPLIT: 0
	.text
	.p2alignl 6, 3212836864
	.fill 256, 4, 3212836864
	.type	__hip_cuid_7044275c75aac686,@object ; @__hip_cuid_7044275c75aac686
	.section	.bss,"aw",@nobits
	.globl	__hip_cuid_7044275c75aac686
__hip_cuid_7044275c75aac686:
	.byte	0                               ; 0x0
	.size	__hip_cuid_7044275c75aac686, 1

	.ident	"AMD clang version 19.0.0git (https://github.com/RadeonOpenCompute/llvm-project roc-6.4.0 25133 c7fe45cf4b819c5991fe208aaa96edf142730f1d)"
	.section	".note.GNU-stack","",@progbits
	.addrsig
	.addrsig_sym __hip_cuid_7044275c75aac686
	.amdgpu_metadata
---
amdhsa.kernels:
  - .agpr_count:     158
    .args:
      - .actual_access:  read_only
        .address_space:  global
        .offset:         0
        .size:           8
        .value_kind:     global_buffer
      - .actual_access:  read_only
        .address_space:  global
        .offset:         8
        .size:           8
        .value_kind:     global_buffer
      - .actual_access:  read_only
        .address_space:  global
        .offset:         16
        .size:           8
        .value_kind:     global_buffer
      - .actual_access:  read_only
        .address_space:  global
        .offset:         24
        .size:           8
        .value_kind:     global_buffer
      - .actual_access:  read_only
        .address_space:  global
        .offset:         32
        .size:           8
        .value_kind:     global_buffer
      - .offset:         40
        .size:           8
        .value_kind:     by_value
      - .address_space:  global
        .offset:         48
        .size:           8
        .value_kind:     global_buffer
      - .address_space:  global
        .offset:         56
        .size:           8
        .value_kind:     global_buffer
      - .address_space:  global
        .offset:         64
        .size:           8
        .value_kind:     global_buffer
      - .address_space:  global
        .offset:         72
        .size:           8
        .value_kind:     global_buffer
      - .offset:         80
        .size:           4
        .value_kind:     by_value
      - .address_space:  global
        .offset:         88
        .size:           8
        .value_kind:     global_buffer
      - .address_space:  global
        .offset:         96
        .size:           8
        .value_kind:     global_buffer
    .group_segment_fixed_size: 16320
    .kernarg_segment_align: 8
    .kernarg_segment_size: 104
    .language:       OpenCL C
    .language_version:
      - 2
      - 0
    .max_flat_workgroup_size: 102
    .name:           bluestein_single_back_len340_dim1_dp_op_CI_CI
    .private_segment_fixed_size: 0
    .sgpr_count:     66
    .sgpr_spill_count: 0
    .symbol:         bluestein_single_back_len340_dim1_dp_op_CI_CI.kd
    .uniform_work_group_size: 1
    .uses_dynamic_stack: false
    .vgpr_count:     414
    .vgpr_spill_count: 0
    .wavefront_size: 64
amdhsa.target:   amdgcn-amd-amdhsa--gfx950
amdhsa.version:
  - 1
  - 2
...

	.end_amdgpu_metadata
